;; amdgpu-corpus repo=ROCm/rocFFT kind=compiled arch=gfx1201 opt=O3
	.text
	.amdgcn_target "amdgcn-amd-amdhsa--gfx1201"
	.amdhsa_code_object_version 6
	.protected	fft_rtc_back_len1755_factors_13_3_3_3_5_wgs_117_tpt_117_halfLds_sp_op_CI_CI_sbrr_dirReg ; -- Begin function fft_rtc_back_len1755_factors_13_3_3_3_5_wgs_117_tpt_117_halfLds_sp_op_CI_CI_sbrr_dirReg
	.globl	fft_rtc_back_len1755_factors_13_3_3_3_5_wgs_117_tpt_117_halfLds_sp_op_CI_CI_sbrr_dirReg
	.p2align	8
	.type	fft_rtc_back_len1755_factors_13_3_3_3_5_wgs_117_tpt_117_halfLds_sp_op_CI_CI_sbrr_dirReg,@function
fft_rtc_back_len1755_factors_13_3_3_3_5_wgs_117_tpt_117_halfLds_sp_op_CI_CI_sbrr_dirReg: ; @fft_rtc_back_len1755_factors_13_3_3_3_5_wgs_117_tpt_117_halfLds_sp_op_CI_CI_sbrr_dirReg
; %bb.0:
	s_clause 0x2
	s_load_b128 s[12:15], s[0:1], 0x18
	s_load_b128 s[8:11], s[0:1], 0x0
	;; [unrolled: 1-line block ×3, first 2 shown]
	v_mul_u32_u24_e32 v1, 0x231, v0
	v_mov_b32_e32 v56, 0
	v_mov_b32_e32 v57, 0
	s_wait_kmcnt 0x0
	s_load_b64 s[18:19], s[12:13], 0x0
	s_load_b64 s[16:17], s[14:15], 0x0
	v_lshrrev_b32_e32 v2, 16, v1
	v_mov_b32_e32 v1, 0
	v_cmp_lt_u64_e64 s2, s[10:11], 2
	s_delay_alu instid0(VALU_DEP_2) | instskip(NEXT) | instid1(VALU_DEP_2)
	v_dual_mov_b32 v9, v1 :: v_dual_add_nc_u32 v8, ttmp9, v2
	s_and_b32 vcc_lo, exec_lo, s2
	s_cbranch_vccnz .LBB0_8
; %bb.1:
	s_load_b64 s[2:3], s[0:1], 0x10
	v_mov_b32_e32 v56, 0
	v_mov_b32_e32 v57, 0
	s_delay_alu instid0(VALU_DEP_2)
	v_mov_b32_e32 v4, v56
	s_add_nc_u64 s[20:21], s[14:15], 8
	s_add_nc_u64 s[22:23], s[12:13], 8
	s_mov_b64 s[24:25], 1
	v_mov_b32_e32 v5, v57
	s_wait_kmcnt 0x0
	s_add_nc_u64 s[26:27], s[2:3], 8
	s_mov_b32 s3, 0
.LBB0_2:                                ; =>This Inner Loop Header: Depth=1
	s_load_b64 s[28:29], s[26:27], 0x0
                                        ; implicit-def: $vgpr6_vgpr7
	s_mov_b32 s2, exec_lo
	s_wait_kmcnt 0x0
	v_or_b32_e32 v2, s29, v9
	s_delay_alu instid0(VALU_DEP_1)
	v_cmpx_ne_u64_e32 0, v[1:2]
	s_wait_alu 0xfffe
	s_xor_b32 s30, exec_lo, s2
	s_cbranch_execz .LBB0_4
; %bb.3:                                ;   in Loop: Header=BB0_2 Depth=1
	s_cvt_f32_u32 s2, s28
	s_cvt_f32_u32 s31, s29
	s_sub_nc_u64 s[36:37], 0, s[28:29]
	s_wait_alu 0xfffe
	s_delay_alu instid0(SALU_CYCLE_1) | instskip(SKIP_1) | instid1(SALU_CYCLE_2)
	s_fmamk_f32 s2, s31, 0x4f800000, s2
	s_wait_alu 0xfffe
	v_s_rcp_f32 s2, s2
	s_delay_alu instid0(TRANS32_DEP_1) | instskip(SKIP_1) | instid1(SALU_CYCLE_2)
	s_mul_f32 s2, s2, 0x5f7ffffc
	s_wait_alu 0xfffe
	s_mul_f32 s31, s2, 0x2f800000
	s_wait_alu 0xfffe
	s_delay_alu instid0(SALU_CYCLE_2) | instskip(SKIP_1) | instid1(SALU_CYCLE_2)
	s_trunc_f32 s31, s31
	s_wait_alu 0xfffe
	s_fmamk_f32 s2, s31, 0xcf800000, s2
	s_cvt_u32_f32 s35, s31
	s_wait_alu 0xfffe
	s_delay_alu instid0(SALU_CYCLE_1) | instskip(SKIP_1) | instid1(SALU_CYCLE_2)
	s_cvt_u32_f32 s34, s2
	s_wait_alu 0xfffe
	s_mul_u64 s[38:39], s[36:37], s[34:35]
	s_wait_alu 0xfffe
	s_mul_hi_u32 s41, s34, s39
	s_mul_i32 s40, s34, s39
	s_mul_hi_u32 s2, s34, s38
	s_mul_i32 s33, s35, s38
	s_wait_alu 0xfffe
	s_add_nc_u64 s[40:41], s[2:3], s[40:41]
	s_mul_hi_u32 s31, s35, s38
	s_mul_hi_u32 s42, s35, s39
	s_add_co_u32 s2, s40, s33
	s_wait_alu 0xfffe
	s_add_co_ci_u32 s2, s41, s31
	s_mul_i32 s38, s35, s39
	s_add_co_ci_u32 s39, s42, 0
	s_wait_alu 0xfffe
	s_add_nc_u64 s[38:39], s[2:3], s[38:39]
	s_wait_alu 0xfffe
	v_add_co_u32 v2, s2, s34, s38
	s_delay_alu instid0(VALU_DEP_1) | instskip(SKIP_1) | instid1(VALU_DEP_1)
	s_cmp_lg_u32 s2, 0
	s_add_co_ci_u32 s35, s35, s39
	v_readfirstlane_b32 s34, v2
	s_wait_alu 0xfffe
	s_delay_alu instid0(VALU_DEP_1)
	s_mul_u64 s[36:37], s[36:37], s[34:35]
	s_wait_alu 0xfffe
	s_mul_hi_u32 s39, s34, s37
	s_mul_i32 s38, s34, s37
	s_mul_hi_u32 s2, s34, s36
	s_mul_i32 s33, s35, s36
	s_wait_alu 0xfffe
	s_add_nc_u64 s[38:39], s[2:3], s[38:39]
	s_mul_hi_u32 s31, s35, s36
	s_mul_hi_u32 s34, s35, s37
	s_wait_alu 0xfffe
	s_add_co_u32 s2, s38, s33
	s_add_co_ci_u32 s2, s39, s31
	s_mul_i32 s36, s35, s37
	s_add_co_ci_u32 s37, s34, 0
	s_wait_alu 0xfffe
	s_add_nc_u64 s[36:37], s[2:3], s[36:37]
	s_wait_alu 0xfffe
	v_add_co_u32 v6, s2, v2, s36
	s_delay_alu instid0(VALU_DEP_1) | instskip(SKIP_1) | instid1(VALU_DEP_1)
	s_cmp_lg_u32 s2, 0
	s_add_co_ci_u32 s2, s35, s37
	v_mul_hi_u32 v12, v8, v6
	s_wait_alu 0xfffe
	v_mad_co_u64_u32 v[2:3], null, v8, s2, 0
	v_mad_co_u64_u32 v[6:7], null, v9, v6, 0
	;; [unrolled: 1-line block ×3, first 2 shown]
	s_delay_alu instid0(VALU_DEP_3) | instskip(SKIP_1) | instid1(VALU_DEP_4)
	v_add_co_u32 v2, vcc_lo, v12, v2
	s_wait_alu 0xfffd
	v_add_co_ci_u32_e32 v3, vcc_lo, 0, v3, vcc_lo
	s_delay_alu instid0(VALU_DEP_2) | instskip(SKIP_1) | instid1(VALU_DEP_2)
	v_add_co_u32 v2, vcc_lo, v2, v6
	s_wait_alu 0xfffd
	v_add_co_ci_u32_e32 v2, vcc_lo, v3, v7, vcc_lo
	s_wait_alu 0xfffd
	v_add_co_ci_u32_e32 v3, vcc_lo, 0, v11, vcc_lo
	s_delay_alu instid0(VALU_DEP_2) | instskip(SKIP_1) | instid1(VALU_DEP_2)
	v_add_co_u32 v6, vcc_lo, v2, v10
	s_wait_alu 0xfffd
	v_add_co_ci_u32_e32 v7, vcc_lo, 0, v3, vcc_lo
	s_delay_alu instid0(VALU_DEP_2) | instskip(SKIP_1) | instid1(VALU_DEP_3)
	v_mul_lo_u32 v10, s29, v6
	v_mad_co_u64_u32 v[2:3], null, s28, v6, 0
	v_mul_lo_u32 v11, s28, v7
	s_delay_alu instid0(VALU_DEP_2) | instskip(NEXT) | instid1(VALU_DEP_2)
	v_sub_co_u32 v2, vcc_lo, v8, v2
	v_add3_u32 v3, v3, v11, v10
	s_delay_alu instid0(VALU_DEP_1) | instskip(SKIP_1) | instid1(VALU_DEP_1)
	v_sub_nc_u32_e32 v10, v9, v3
	s_wait_alu 0xfffd
	v_subrev_co_ci_u32_e64 v10, s2, s29, v10, vcc_lo
	v_add_co_u32 v11, s2, v6, 2
	s_wait_alu 0xf1ff
	v_add_co_ci_u32_e64 v12, s2, 0, v7, s2
	v_sub_co_u32 v13, s2, v2, s28
	v_sub_co_ci_u32_e32 v3, vcc_lo, v9, v3, vcc_lo
	s_wait_alu 0xf1ff
	v_subrev_co_ci_u32_e64 v10, s2, 0, v10, s2
	s_delay_alu instid0(VALU_DEP_3) | instskip(NEXT) | instid1(VALU_DEP_3)
	v_cmp_le_u32_e32 vcc_lo, s28, v13
	v_cmp_eq_u32_e64 s2, s29, v3
	s_wait_alu 0xfffd
	v_cndmask_b32_e64 v13, 0, -1, vcc_lo
	v_cmp_le_u32_e32 vcc_lo, s29, v10
	s_wait_alu 0xfffd
	v_cndmask_b32_e64 v14, 0, -1, vcc_lo
	v_cmp_le_u32_e32 vcc_lo, s28, v2
	;; [unrolled: 3-line block ×3, first 2 shown]
	s_wait_alu 0xfffd
	v_cndmask_b32_e64 v15, 0, -1, vcc_lo
	v_cmp_eq_u32_e32 vcc_lo, s29, v10
	s_wait_alu 0xf1ff
	s_delay_alu instid0(VALU_DEP_2)
	v_cndmask_b32_e64 v2, v15, v2, s2
	s_wait_alu 0xfffd
	v_cndmask_b32_e32 v10, v14, v13, vcc_lo
	v_add_co_u32 v13, vcc_lo, v6, 1
	s_wait_alu 0xfffd
	v_add_co_ci_u32_e32 v14, vcc_lo, 0, v7, vcc_lo
	s_delay_alu instid0(VALU_DEP_3) | instskip(SKIP_1) | instid1(VALU_DEP_2)
	v_cmp_ne_u32_e32 vcc_lo, 0, v10
	s_wait_alu 0xfffd
	v_dual_cndmask_b32 v3, v14, v12 :: v_dual_cndmask_b32 v10, v13, v11
	v_cmp_ne_u32_e32 vcc_lo, 0, v2
	s_wait_alu 0xfffd
	s_delay_alu instid0(VALU_DEP_2)
	v_dual_cndmask_b32 v7, v7, v3 :: v_dual_cndmask_b32 v6, v6, v10
.LBB0_4:                                ;   in Loop: Header=BB0_2 Depth=1
	s_wait_alu 0xfffe
	s_and_not1_saveexec_b32 s2, s30
	s_cbranch_execz .LBB0_6
; %bb.5:                                ;   in Loop: Header=BB0_2 Depth=1
	v_cvt_f32_u32_e32 v2, s28
	s_sub_co_i32 s30, 0, s28
	s_delay_alu instid0(VALU_DEP_1) | instskip(NEXT) | instid1(TRANS32_DEP_1)
	v_rcp_iflag_f32_e32 v2, v2
	v_mul_f32_e32 v2, 0x4f7ffffe, v2
	s_delay_alu instid0(VALU_DEP_1) | instskip(SKIP_1) | instid1(VALU_DEP_1)
	v_cvt_u32_f32_e32 v2, v2
	s_wait_alu 0xfffe
	v_mul_lo_u32 v3, s30, v2
	s_delay_alu instid0(VALU_DEP_1) | instskip(NEXT) | instid1(VALU_DEP_1)
	v_mul_hi_u32 v3, v2, v3
	v_add_nc_u32_e32 v2, v2, v3
	s_delay_alu instid0(VALU_DEP_1) | instskip(NEXT) | instid1(VALU_DEP_1)
	v_mul_hi_u32 v2, v8, v2
	v_mul_lo_u32 v3, v2, s28
	v_add_nc_u32_e32 v6, 1, v2
	s_delay_alu instid0(VALU_DEP_2) | instskip(NEXT) | instid1(VALU_DEP_1)
	v_sub_nc_u32_e32 v3, v8, v3
	v_subrev_nc_u32_e32 v7, s28, v3
	v_cmp_le_u32_e32 vcc_lo, s28, v3
	s_wait_alu 0xfffd
	s_delay_alu instid0(VALU_DEP_2) | instskip(SKIP_1) | instid1(VALU_DEP_2)
	v_cndmask_b32_e32 v3, v3, v7, vcc_lo
	v_dual_mov_b32 v7, v1 :: v_dual_cndmask_b32 v2, v2, v6
	v_cmp_le_u32_e32 vcc_lo, s28, v3
	s_delay_alu instid0(VALU_DEP_2) | instskip(SKIP_1) | instid1(VALU_DEP_1)
	v_add_nc_u32_e32 v6, 1, v2
	s_wait_alu 0xfffd
	v_cndmask_b32_e32 v6, v2, v6, vcc_lo
.LBB0_6:                                ;   in Loop: Header=BB0_2 Depth=1
	s_wait_alu 0xfffe
	s_or_b32 exec_lo, exec_lo, s2
	v_mul_lo_u32 v10, v7, s28
	s_delay_alu instid0(VALU_DEP_2)
	v_mul_lo_u32 v11, v6, s29
	s_load_b64 s[30:31], s[22:23], 0x0
	v_mad_co_u64_u32 v[2:3], null, v6, s28, 0
	s_load_b64 s[28:29], s[20:21], 0x0
	s_add_nc_u64 s[24:25], s[24:25], 1
	s_add_nc_u64 s[20:21], s[20:21], 8
	s_wait_alu 0xfffe
	v_cmp_ge_u64_e64 s2, s[24:25], s[10:11]
	s_add_nc_u64 s[22:23], s[22:23], 8
	s_add_nc_u64 s[26:27], s[26:27], 8
	v_add3_u32 v3, v3, v11, v10
	v_sub_co_u32 v2, vcc_lo, v8, v2
	s_wait_alu 0xfffd
	s_delay_alu instid0(VALU_DEP_2) | instskip(SKIP_2) | instid1(VALU_DEP_1)
	v_sub_co_ci_u32_e32 v3, vcc_lo, v9, v3, vcc_lo
	s_and_b32 vcc_lo, exec_lo, s2
	s_wait_kmcnt 0x0
	v_mul_lo_u32 v8, s30, v3
	v_mul_lo_u32 v9, s31, v2
	v_mad_co_u64_u32 v[56:57], null, s30, v2, v[56:57]
	v_mul_lo_u32 v3, s28, v3
	v_mul_lo_u32 v10, s29, v2
	v_mad_co_u64_u32 v[4:5], null, s28, v2, v[4:5]
	s_delay_alu instid0(VALU_DEP_4) | instskip(NEXT) | instid1(VALU_DEP_2)
	v_add3_u32 v57, v9, v57, v8
	v_add3_u32 v5, v10, v5, v3
	s_wait_alu 0xfffe
	s_cbranch_vccnz .LBB0_9
; %bb.7:                                ;   in Loop: Header=BB0_2 Depth=1
	v_dual_mov_b32 v9, v7 :: v_dual_mov_b32 v8, v6
	s_branch .LBB0_2
.LBB0_8:
	v_dual_mov_b32 v4, v56 :: v_dual_mov_b32 v5, v57
	s_delay_alu instid0(VALU_DEP_2)
	v_dual_mov_b32 v6, v8 :: v_dual_mov_b32 v7, v9
.LBB0_9:
	s_load_b64 s[0:1], s[0:1], 0x28
	v_mul_hi_u32 v2, 0x2302303, v0
	s_lshl_b64 s[10:11], s[10:11], 3
                                        ; implicit-def: $vgpr58
	s_wait_alu 0xfffe
	s_add_nc_u64 s[2:3], s[14:15], s[10:11]
                                        ; implicit-def: $sgpr14
	s_wait_kmcnt 0x0
	v_cmp_gt_u64_e32 vcc_lo, s[0:1], v[6:7]
	v_cmp_le_u64_e64 s0, s[0:1], v[6:7]
	s_delay_alu instid0(VALU_DEP_1)
	s_and_saveexec_b32 s1, s0
	s_wait_alu 0xfffe
	s_xor_b32 s0, exec_lo, s1
; %bb.10:
	v_mul_u32_u24_e32 v1, 0x75, v2
	s_mov_b32 s14, 0
                                        ; implicit-def: $vgpr2
                                        ; implicit-def: $vgpr56_vgpr57
	s_delay_alu instid0(VALU_DEP_1)
	v_sub_nc_u32_e32 v58, v0, v1
                                        ; implicit-def: $vgpr0
; %bb.11:
	s_wait_alu 0xfffe
	s_or_saveexec_b32 s1, s0
	s_load_b64 s[2:3], s[2:3], 0x0
	v_dual_mov_b32 v9, s14 :: v_dual_mov_b32 v8, s14
                                        ; implicit-def: $vgpr41
                                        ; implicit-def: $vgpr49
                                        ; implicit-def: $vgpr47
                                        ; implicit-def: $vgpr33
                                        ; implicit-def: $vgpr43
                                        ; implicit-def: $vgpr27
                                        ; implicit-def: $vgpr19
                                        ; implicit-def: $vgpr31
                                        ; implicit-def: $vgpr25
                                        ; implicit-def: $vgpr13
                                        ; implicit-def: $vgpr17
                                        ; implicit-def: $vgpr11
                                        ; implicit-def: $vgpr1
                                        ; implicit-def: $vgpr37
                                        ; implicit-def: $vgpr39
                                        ; implicit-def: $vgpr29
                                        ; implicit-def: $vgpr21
                                        ; implicit-def: $vgpr15
                                        ; implicit-def: $vgpr3
                                        ; implicit-def: $vgpr53
                                        ; implicit-def: $vgpr55
                                        ; implicit-def: $vgpr51
                                        ; implicit-def: $vgpr45
                                        ; implicit-def: $vgpr35
                                        ; implicit-def: $vgpr23
	s_xor_b32 exec_lo, exec_lo, s1
	s_cbranch_execz .LBB0_15
; %bb.12:
	s_add_nc_u64 s[10:11], s[12:13], s[10:11]
	v_mul_u32_u24_e32 v1, 0x75, v2
	s_load_b64 s[10:11], s[10:11], 0x0
                                        ; implicit-def: $vgpr38
	s_delay_alu instid0(VALU_DEP_1) | instskip(SKIP_1) | instid1(VALU_DEP_2)
	v_sub_nc_u32_e32 v58, v0, v1
	v_lshlrev_b64_e32 v[0:1], 3, v[56:57]
	v_add_nc_u32_e32 v24, 0x21c, v58
	v_add_nc_u32_e32 v20, 0x87, v58
	;; [unrolled: 1-line block ×3, first 2 shown]
	v_mad_co_u64_u32 v[2:3], null, s18, v58, 0
	s_delay_alu instid0(VALU_DEP_4)
	v_mad_co_u64_u32 v[18:19], null, s18, v24, 0
	v_add_nc_u32_e32 v23, 0x195, v58
	v_mad_co_u64_u32 v[8:9], null, s18, v20, 0
	v_mad_co_u64_u32 v[10:11], null, s18, v22, 0
	s_wait_kmcnt 0x0
	v_mul_lo_u32 v21, s11, v6
	v_mul_lo_u32 v25, s10, v7
	v_mad_co_u64_u32 v[12:13], null, s10, v6, 0
	v_mad_co_u64_u32 v[16:17], null, s18, v23, 0
	;; [unrolled: 1-line block ×3, first 2 shown]
	v_mov_b32_e32 v3, v9
	v_mov_b32_e32 v9, v11
	v_add3_u32 v13, v13, v25, v21
	v_mov_b32_e32 v11, v17
	s_delay_alu instid0(VALU_DEP_4) | instskip(NEXT) | instid1(VALU_DEP_3)
	v_mad_co_u64_u32 v[20:21], null, s19, v20, v[3:4]
	v_lshlrev_b64_e32 v[12:13], 3, v[12:13]
	v_mov_b32_e32 v3, v14
	v_mad_co_u64_u32 v[14:15], null, s19, v22, v[9:10]
	s_delay_alu instid0(VALU_DEP_3) | instskip(SKIP_4) | instid1(VALU_DEP_3)
	v_mad_co_u64_u32 v[22:23], null, s19, v23, v[11:12]
	v_add_co_u32 v11, s0, s4, v12
	s_wait_alu 0xf1ff
	v_add_co_ci_u32_e64 v12, s0, s5, v13, s0
	v_mov_b32_e32 v9, v20
	v_add_co_u32 v15, s0, v11, v0
	v_mov_b32_e32 v11, v14
	s_wait_alu 0xf1ff
	v_add_co_ci_u32_e64 v21, s0, v12, v1, s0
	v_lshlrev_b64_e32 v[0:1], 3, v[8:9]
	v_add_nc_u32_e32 v20, 0x2a3, v58
	v_lshlrev_b64_e32 v[2:3], 3, v[2:3]
	v_lshlrev_b64_e32 v[9:10], 3, v[10:11]
	v_dual_mov_b32 v8, v19 :: v_dual_mov_b32 v17, v22
	s_mov_b32 s4, exec_lo
	s_delay_alu instid0(VALU_DEP_3) | instskip(NEXT) | instid1(VALU_DEP_2)
	v_add_co_u32 v2, s0, v15, v2
	v_mad_co_u64_u32 v[13:14], null, s19, v24, v[8:9]
	s_wait_alu 0xf1ff
	v_add_co_ci_u32_e64 v3, s0, v21, v3, s0
	v_add_co_u32 v0, s0, v15, v0
	v_lshlrev_b64_e32 v[11:12], 3, v[16:17]
	v_mad_co_u64_u32 v[16:17], null, s18, v20, 0
	v_add_nc_u32_e32 v24, 0x32a, v58
	s_wait_alu 0xf1ff
	v_add_co_ci_u32_e64 v1, s0, v21, v1, s0
	v_add_co_u32 v8, s0, v15, v9
	s_wait_alu 0xf1ff
	v_add_co_ci_u32_e64 v9, s0, v21, v10, s0
	v_mov_b32_e32 v19, v13
	v_mad_co_u64_u32 v[13:14], null, s18, v24, 0
	v_add_co_u32 v10, s0, v15, v11
	s_wait_alu 0xf1ff
	v_add_co_ci_u32_e64 v11, s0, v21, v12, s0
	v_mov_b32_e32 v12, v17
	s_clause 0x3
	global_load_b64 v[40:41], v[2:3], off
	global_load_b64 v[48:49], v[0:1], off
	;; [unrolled: 1-line block ×4, first 2 shown]
	v_mov_b32_e32 v2, v14
	v_lshlrev_b64_e32 v[0:1], 3, v[18:19]
	v_add_nc_u32_e32 v18, 0x438, v58
	v_mad_co_u64_u32 v[22:23], null, s19, v20, v[12:13]
	v_add_nc_u32_e32 v12, 0x3b1, v58
	v_mad_co_u64_u32 v[2:3], null, s19, v24, v[2:3]
	v_add_co_u32 v0, s0, v15, v0
	s_delay_alu instid0(VALU_DEP_3) | instskip(SKIP_4) | instid1(VALU_DEP_4)
	v_mad_co_u64_u32 v[8:9], null, s18, v12, 0
	v_mov_b32_e32 v17, v22
	s_wait_alu 0xf1ff
	v_add_co_ci_u32_e64 v1, s0, v21, v1, s0
	v_dual_mov_b32 v14, v2 :: v_dual_add_nc_u32 v19, 0x546, v58
	v_mov_b32_e32 v3, v9
	v_lshlrev_b64_e32 v[9:10], 3, v[16:17]
	s_delay_alu instid0(VALU_DEP_3) | instskip(NEXT) | instid1(VALU_DEP_4)
	v_lshlrev_b64_e32 v[13:14], 3, v[13:14]
	v_mad_co_u64_u32 v[28:29], null, s18, v19, 0
	s_delay_alu instid0(VALU_DEP_4) | instskip(SKIP_4) | instid1(VALU_DEP_4)
	v_mad_co_u64_u32 v[2:3], null, s19, v12, v[3:4]
	v_mad_co_u64_u32 v[11:12], null, s18, v18, 0
	v_add_co_u32 v16, s0, v15, v9
	s_wait_alu 0xf1ff
	v_add_co_ci_u32_e64 v17, s0, v21, v10, s0
	v_dual_mov_b32 v9, v2 :: v_dual_add_nc_u32 v10, 0x4bf, v58
	s_delay_alu instid0(VALU_DEP_4) | instskip(SKIP_2) | instid1(VALU_DEP_4)
	v_mov_b32_e32 v2, v12
	v_add_nc_u32_e32 v20, 0x5cd, v58
	v_add_co_u32 v13, s0, v15, v13
	v_mad_co_u64_u32 v[24:25], null, s18, v10, 0
	s_delay_alu instid0(VALU_DEP_4) | instskip(SKIP_3) | instid1(VALU_DEP_3)
	v_mad_co_u64_u32 v[2:3], null, s19, v18, v[2:3]
	v_lshlrev_b64_e32 v[8:9], 3, v[8:9]
	s_wait_alu 0xf1ff
	v_add_co_ci_u32_e64 v14, s0, v21, v14, s0
	v_dual_mov_b32 v3, v25 :: v_dual_mov_b32 v12, v2
	s_delay_alu instid0(VALU_DEP_3) | instskip(NEXT) | instid1(VALU_DEP_2)
	v_add_co_u32 v8, s0, v15, v8
	v_mad_co_u64_u32 v[2:3], null, s19, v10, v[3:4]
	v_mov_b32_e32 v3, v29
	v_mad_co_u64_u32 v[30:31], null, s18, v20, 0
	v_add_nc_u32_e32 v10, 0x654, v58
	s_wait_alu 0xf1ff
	v_add_co_ci_u32_e64 v9, s0, v21, v9, s0
	v_mov_b32_e32 v25, v2
	v_mad_co_u64_u32 v[34:35], null, s19, v19, v[3:4]
	v_mad_co_u64_u32 v[35:36], null, s18, v10, 0
	s_clause 0x3
	global_load_b64 v[42:43], v[0:1], off
	global_load_b64 v[26:27], v[16:17], off
	;; [unrolled: 1-line block ×4, first 2 shown]
	v_mov_b32_e32 v0, v31
	v_lshlrev_b64_e32 v[8:9], 3, v[11:12]
                                        ; implicit-def: $vgpr14
                                        ; implicit-def: $vgpr16
	v_mov_b32_e32 v29, v34
	s_delay_alu instid0(VALU_DEP_3) | instskip(SKIP_1) | instid1(VALU_DEP_4)
	v_mad_co_u64_u32 v[0:1], null, s19, v20, v[0:1]
	v_mov_b32_e32 v1, v36
	v_add_co_u32 v2, s0, v15, v8
	s_wait_alu 0xf1ff
	v_add_co_ci_u32_e64 v3, s0, v21, v9, s0
	v_lshlrev_b64_e32 v[8:9], 3, v[24:25]
	s_delay_alu instid0(VALU_DEP_3) | instskip(SKIP_2) | instid1(VALU_DEP_4)
	v_mad_co_u64_u32 v[10:11], null, s19, v10, v[1:2]
	v_lshlrev_b64_e32 v[11:12], 3, v[28:29]
	v_mov_b32_e32 v31, v0
                                        ; implicit-def: $vgpr20
                                        ; implicit-def: $vgpr28
                                        ; implicit-def: $vgpr24
	v_add_co_u32 v0, s0, v15, v8
	s_wait_alu 0xf1ff
	v_add_co_ci_u32_e64 v1, s0, v21, v9, s0
	v_mov_b32_e32 v36, v10
	v_lshlrev_b64_e32 v[8:9], 3, v[30:31]
	v_add_co_u32 v10, s0, v15, v11
	s_wait_alu 0xf1ff
	v_add_co_ci_u32_e64 v11, s0, v21, v12, s0
	v_lshlrev_b64_e32 v[12:13], 3, v[35:36]
	s_delay_alu instid0(VALU_DEP_4) | instskip(SKIP_2) | instid1(VALU_DEP_3)
	v_add_co_u32 v8, s0, v15, v8
	s_wait_alu 0xf1ff
	v_add_co_ci_u32_e64 v9, s0, v21, v9, s0
                                        ; implicit-def: $vgpr36
                                        ; implicit-def: $vgpr30
	v_add_co_u32 v12, s0, v15, v12
	s_wait_alu 0xf1ff
	v_add_co_ci_u32_e64 v13, s0, v21, v13, s0
	s_clause 0x4
	global_load_b64 v[34:35], v[2:3], off
	global_load_b64 v[44:45], v[0:1], off
	global_load_b64 v[50:51], v[10:11], off
	global_load_b64 v[54:55], v[8:9], off
	global_load_b64 v[52:53], v[12:13], off
	v_dual_mov_b32 v8, 0 :: v_dual_mov_b32 v9, 0
                                        ; implicit-def: $vgpr2
                                        ; implicit-def: $vgpr0
                                        ; implicit-def: $vgpr10
                                        ; implicit-def: $vgpr12
	v_cmpx_gt_u32_e32 18, v58
	s_cbranch_execz .LBB0_14
; %bb.13:
	v_add_nc_u32_e32 v16, 0x183, v58
	v_add_nc_u32_e32 v20, 0x20a, v58
	;; [unrolled: 1-line block ×3, first 2 shown]
	s_delay_alu instid0(VALU_DEP_3) | instskip(SKIP_1) | instid1(VALU_DEP_4)
	v_mad_co_u64_u32 v[8:9], null, s18, v16, 0
	v_add_nc_u32_e32 v12, 0x75, v58
	v_mad_co_u64_u32 v[10:11], null, s18, v20, 0
	v_add_nc_u32_e32 v14, 0xfc, v58
	s_delay_alu instid0(VALU_DEP_3) | instskip(NEXT) | instid1(VALU_DEP_2)
	v_mad_co_u64_u32 v[0:1], null, s18, v12, 0
	v_mad_co_u64_u32 v[2:3], null, s18, v14, 0
	s_delay_alu instid0(VALU_DEP_1) | instskip(SKIP_2) | instid1(VALU_DEP_4)
	v_mad_co_u64_u32 v[12:13], null, s19, v12, v[1:2]
	v_mov_b32_e32 v1, v9
	v_mov_b32_e32 v9, v11
	v_mad_co_u64_u32 v[13:14], null, s19, v14, v[3:4]
	s_delay_alu instid0(VALU_DEP_3) | instskip(SKIP_1) | instid1(VALU_DEP_3)
	v_mad_co_u64_u32 v[16:17], null, s19, v16, v[1:2]
	v_dual_mov_b32 v1, v12 :: v_dual_add_nc_u32 v14, 0x291, v58
	v_mov_b32_e32 v3, v13
	v_mad_co_u64_u32 v[11:12], null, s19, v20, v[9:10]
	s_delay_alu instid0(VALU_DEP_4) | instskip(NEXT) | instid1(VALU_DEP_4)
	v_mov_b32_e32 v9, v16
	v_mad_co_u64_u32 v[28:29], null, s18, v14, 0
	v_lshlrev_b64_e32 v[0:1], 3, v[0:1]
	v_lshlrev_b64_e32 v[2:3], 3, v[2:3]
	s_delay_alu instid0(VALU_DEP_4)
	v_lshlrev_b64_e32 v[8:9], 3, v[8:9]
	v_lshlrev_b64_e32 v[10:11], 3, v[10:11]
	v_mov_b32_e32 v12, v29
	v_add_co_u32 v0, s0, v15, v0
	s_wait_alu 0xf1ff
	v_add_co_ci_u32_e64 v1, s0, v21, v1, s0
	s_delay_alu instid0(VALU_DEP_3)
	v_mad_co_u64_u32 v[12:13], null, s19, v14, v[12:13]
	v_add_nc_u32_e32 v20, 0x318, v58
	v_add_co_u32 v2, s0, v15, v2
	s_wait_alu 0xf1ff
	v_add_co_ci_u32_e64 v3, s0, v21, v3, s0
	v_add_co_u32 v13, s0, v15, v8
	v_mov_b32_e32 v29, v12
	v_mad_co_u64_u32 v[16:17], null, s18, v20, 0
	s_wait_alu 0xf1ff
	v_add_co_ci_u32_e64 v14, s0, v21, v9, s0
	v_add_co_u32 v10, s0, v15, v10
	s_wait_alu 0xf1ff
	v_add_co_ci_u32_e64 v11, s0, v21, v11, s0
	s_delay_alu instid0(VALU_DEP_4) | instskip(NEXT) | instid1(VALU_DEP_1)
	v_mov_b32_e32 v8, v17
	v_mad_co_u64_u32 v[38:39], null, s19, v20, v[8:9]
	v_add_nc_u32_e32 v20, 0x426, v58
	s_clause 0x3
	global_load_b64 v[8:9], v[0:1], off
	global_load_b64 v[30:31], v[2:3], off
	;; [unrolled: 1-line block ×4, first 2 shown]
	v_lshlrev_b64_e32 v[0:1], 3, v[28:29]
	v_add_nc_u32_e32 v14, 0x4ad, v58
	v_mad_co_u64_u32 v[10:11], null, s18, v20, 0
	v_dual_mov_b32 v17, v38 :: v_dual_add_nc_u32 v56, 0x39f, v58
	s_delay_alu instid0(VALU_DEP_4) | instskip(SKIP_2) | instid1(VALU_DEP_3)
	v_add_co_u32 v0, s0, v15, v0
	s_wait_alu 0xf1ff
	v_add_co_ci_u32_e64 v1, s0, v21, v1, s0
	v_mad_co_u64_u32 v[36:37], null, s18, v56, 0
	v_lshlrev_b64_e32 v[16:17], 3, v[16:17]
	v_mad_co_u64_u32 v[28:29], null, s18, v14, 0
	s_delay_alu instid0(VALU_DEP_3) | instskip(NEXT) | instid1(VALU_DEP_3)
	v_mov_b32_e32 v2, v37
	v_add_co_u32 v38, s0, v15, v16
	s_wait_alu 0xf1ff
	s_delay_alu instid0(VALU_DEP_4) | instskip(NEXT) | instid1(VALU_DEP_3)
	v_add_co_ci_u32_e64 v39, s0, v21, v17, s0
	v_mad_co_u64_u32 v[2:3], null, s19, v56, v[2:3]
	v_mov_b32_e32 v3, v11
	s_delay_alu instid0(VALU_DEP_2) | instskip(NEXT) | instid1(VALU_DEP_2)
	v_mov_b32_e32 v37, v2
	v_mad_co_u64_u32 v[2:3], null, s19, v20, v[3:4]
	v_add_nc_u32_e32 v20, 0x534, v58
	s_delay_alu instid0(VALU_DEP_3) | instskip(NEXT) | instid1(VALU_DEP_2)
	v_lshlrev_b64_e32 v[16:17], 3, v[36:37]
	v_mad_co_u64_u32 v[36:37], null, s18, v20, 0
	s_delay_alu instid0(VALU_DEP_4) | instskip(NEXT) | instid1(VALU_DEP_3)
	v_dual_mov_b32 v11, v2 :: v_dual_mov_b32 v2, v29
	v_add_co_u32 v56, s0, v15, v16
	v_add_nc_u32_e32 v16, 0x5bb, v58
	s_delay_alu instid0(VALU_DEP_3) | instskip(NEXT) | instid1(VALU_DEP_4)
	v_lshlrev_b64_e32 v[10:11], 3, v[10:11]
	v_mad_co_u64_u32 v[2:3], null, s19, v14, v[2:3]
	v_mov_b32_e32 v3, v37
	s_delay_alu instid0(VALU_DEP_4) | instskip(SKIP_2) | instid1(VALU_DEP_3)
	v_mad_co_u64_u32 v[59:60], null, s18, v16, 0
	s_wait_alu 0xf1ff
	v_add_co_ci_u32_e64 v57, s0, v21, v17, s0
	v_mad_co_u64_u32 v[63:64], null, s19, v20, v[3:4]
	v_dual_mov_b32 v29, v2 :: v_dual_add_nc_u32 v20, 0x6c9, v58
	s_delay_alu instid0(VALU_DEP_4) | instskip(SKIP_2) | instid1(VALU_DEP_3)
	v_mov_b32_e32 v2, v60
	v_mad_co_u64_u32 v[64:65], null, s18, v69, 0
	v_add_co_u32 v61, s0, v15, v10
	v_mad_co_u64_u32 v[66:67], null, s19, v16, v[2:3]
	v_mad_co_u64_u32 v[67:68], null, s18, v20, 0
	s_delay_alu instid0(VALU_DEP_4)
	v_mov_b32_e32 v14, v65
	s_wait_alu 0xf1ff
	v_add_co_ci_u32_e64 v62, s0, v21, v11, s0
	s_clause 0x3
	global_load_b64 v[16:17], v[0:1], off
	global_load_b64 v[10:11], v[38:39], off
	;; [unrolled: 1-line block ×4, first 2 shown]
	v_mov_b32_e32 v37, v63
	v_mad_co_u64_u32 v[38:39], null, s19, v69, v[14:15]
	v_mov_b32_e32 v14, v68
	v_lshlrev_b64_e32 v[28:29], 3, v[28:29]
	v_mov_b32_e32 v60, v66
	v_lshlrev_b64_e32 v[36:37], 3, v[36:37]
	s_delay_alu instid0(VALU_DEP_4)
	v_mad_co_u64_u32 v[56:57], null, s19, v20, v[14:15]
	v_mov_b32_e32 v65, v38
	v_add_co_u32 v28, s0, v15, v28
	v_lshlrev_b64_e32 v[59:60], 3, v[59:60]
	s_wait_alu 0xf1ff
	v_add_co_ci_u32_e64 v29, s0, v21, v29, s0
	v_add_co_u32 v36, s0, v15, v36
	v_mov_b32_e32 v68, v56
	s_wait_alu 0xf1ff
	v_add_co_ci_u32_e64 v37, s0, v21, v37, s0
	v_lshlrev_b64_e32 v[38:39], 3, v[64:65]
	v_add_co_u32 v56, s0, v15, v59
	s_wait_alu 0xf1ff
	v_add_co_ci_u32_e64 v57, s0, v21, v60, s0
	v_lshlrev_b64_e32 v[59:60], 3, v[67:68]
	s_delay_alu instid0(VALU_DEP_4) | instskip(SKIP_2) | instid1(VALU_DEP_3)
	v_add_co_u32 v38, s0, v15, v38
	s_wait_alu 0xf1ff
	v_add_co_ci_u32_e64 v39, s0, v21, v39, s0
	v_add_co_u32 v59, s0, v15, v59
	s_wait_alu 0xf1ff
	v_add_co_ci_u32_e64 v60, s0, v21, v60, s0
	s_clause 0x4
	global_load_b64 v[14:15], v[28:29], off
	global_load_b64 v[20:21], v[36:37], off
	global_load_b64 v[28:29], v[56:57], off
	global_load_b64 v[38:39], v[38:39], off
	global_load_b64 v[36:37], v[59:60], off
.LBB0_14:
	s_wait_alu 0xfffe
	s_or_b32 exec_lo, exec_lo, s4
.LBB0_15:
	s_delay_alu instid0(SALU_CYCLE_1) | instskip(SKIP_4) | instid1(VALU_DEP_3)
	s_or_b32 exec_lo, exec_lo, s1
	s_wait_loadcnt 0x0
	v_dual_add_f32 v56, v40, v48 :: v_dual_sub_f32 v57, v49, v53
	v_sub_f32_e32 v61, v47, v55
	v_dual_add_f32 v59, v52, v48 :: v_dual_add_f32 v60, v54, v46
	v_dual_add_f32 v56, v56, v46 :: v_dual_mul_f32 v63, 0xbf52af12, v57
	v_mul_f32_e32 v62, 0xbeedf032, v57
	v_cmp_gt_u32_e64 s0, 18, v58
	s_delay_alu instid0(VALU_DEP_3) | instskip(NEXT) | instid1(VALU_DEP_4)
	v_dual_add_f32 v56, v56, v32 :: v_dual_mul_f32 v65, 0xbf6f5d39, v57
	v_fmamk_f32 v72, v59, 0x3f116cb1, v63
	v_fma_f32 v63, 0x3f116cb1, v59, -v63
	v_mul_f32_e32 v64, 0xbf7e222b, v57
	s_delay_alu instid0(VALU_DEP_4)
	v_add_f32_e32 v56, v56, v42
	v_fmamk_f32 v74, v59, 0xbeb58ec6, v65
	v_fma_f32 v65, 0xbeb58ec6, v59, -v65
	v_add_f32_e32 v63, v63, v40
	v_fmamk_f32 v73, v59, 0x3df6dbef, v64
	v_mul_f32_e32 v66, 0xbf29c268, v57
	v_dual_mul_f32 v57, 0xbe750f2a, v57 :: v_dual_add_f32 v56, v56, v26
	v_mul_f32_e32 v67, 0xbf52af12, v61
	v_dual_mul_f32 v68, 0xbf6f5d39, v61 :: v_dual_add_f32 v65, v65, v40
	v_fma_f32 v64, 0x3df6dbef, v59, -v64
	s_delay_alu instid0(VALU_DEP_4) | instskip(NEXT) | instid1(VALU_DEP_3)
	v_dual_add_f32 v56, v56, v18 :: v_dual_mul_f32 v69, 0xbe750f2a, v61
	v_fmamk_f32 v77, v60, 0xbeb58ec6, v68
	v_fma_f32 v68, 0xbeb58ec6, v60, -v68
	s_delay_alu instid0(VALU_DEP_4) | instskip(NEXT) | instid1(VALU_DEP_4)
	v_add_f32_e32 v64, v64, v40
	v_dual_add_f32 v56, v56, v22 :: v_dual_fmamk_f32 v71, v59, 0x3f62ad3f, v62
	v_add_f32_e32 v74, v74, v40
	s_delay_alu instid0(VALU_DEP_2) | instskip(NEXT) | instid1(VALU_DEP_3)
	v_add_f32_e32 v56, v34, v56
	v_add_f32_e32 v71, v71, v40
	v_fma_f32 v62, 0x3f62ad3f, v59, -v62
	s_delay_alu instid0(VALU_DEP_3) | instskip(NEXT) | instid1(VALU_DEP_2)
	v_add_f32_e32 v56, v44, v56
	v_add_f32_e32 v62, v62, v40
	;; [unrolled: 1-line block ×3, first 2 shown]
	v_fmamk_f32 v75, v59, 0xbf3f9e67, v66
	v_mul_f32_e32 v70, 0x3f29c268, v61
	v_fma_f32 v66, 0xbf3f9e67, v59, -v66
	v_fmamk_f32 v76, v59, 0xbf788fa5, v57
	v_fma_f32 v57, 0xbf788fa5, v59, -v57
	v_dual_fmamk_f32 v59, v60, 0x3f116cb1, v67 :: v_dual_add_f32 v56, v50, v56
	v_fma_f32 v67, 0x3f116cb1, v60, -v67
	v_add_f32_e32 v72, v72, v40
	v_add_f32_e32 v75, v75, v40
	;; [unrolled: 1-line block ×4, first 2 shown]
	v_dual_add_f32 v40, v57, v40 :: v_dual_add_f32 v57, v71, v59
	v_add_f32_e32 v59, v62, v67
	v_fmamk_f32 v67, v60, 0xbf788fa5, v69
	v_add_f32_e32 v63, v63, v68
	v_fma_f32 v68, 0xbf788fa5, v60, -v69
	v_fmamk_f32 v69, v60, 0xbf3f9e67, v70
	v_fma_f32 v70, 0xbf3f9e67, v60, -v70
	v_dual_add_f32 v56, v54, v56 :: v_dual_mul_f32 v71, 0x3f7e222b, v61
	s_delay_alu instid0(VALU_DEP_4) | instskip(NEXT) | instid1(VALU_DEP_4)
	v_add_f32_e32 v64, v64, v68
	v_dual_add_f32 v68, v74, v69 :: v_dual_sub_f32 v69, v33, v51
	v_mul_f32_e32 v61, 0x3eedf032, v61
	v_add_f32_e32 v67, v73, v67
	v_dual_add_f32 v65, v65, v70 :: v_dual_add_f32 v62, v52, v56
	s_delay_alu instid0(VALU_DEP_4)
	v_mul_f32_e32 v73, 0xbf7e222b, v69
	v_fmamk_f32 v70, v60, 0x3df6dbef, v71
	v_fma_f32 v71, 0x3df6dbef, v60, -v71
	v_add_f32_e32 v56, v72, v77
	v_add_f32_e32 v72, v50, v32
	v_fmamk_f32 v74, v60, 0x3f62ad3f, v61
	v_fma_f32 v60, 0x3f62ad3f, v60, -v61
	v_add_f32_e32 v61, v66, v71
	v_mul_f32_e32 v71, 0xbe750f2a, v69
	v_fmamk_f32 v66, v72, 0x3df6dbef, v73
	s_delay_alu instid0(VALU_DEP_4) | instskip(SKIP_2) | instid1(VALU_DEP_4)
	v_add_f32_e32 v40, v40, v60
	v_fma_f32 v60, 0x3df6dbef, v72, -v73
	v_mul_f32_e32 v73, 0x3f6f5d39, v69
	v_dual_add_f32 v57, v57, v66 :: v_dual_fmamk_f32 v66, v72, 0xbf788fa5, v71
	v_fma_f32 v71, 0xbf788fa5, v72, -v71
	s_delay_alu instid0(VALU_DEP_4)
	v_dual_add_f32 v59, v59, v60 :: v_dual_mul_f32 v60, 0x3eedf032, v69
	v_add_f32_e32 v70, v75, v70
	v_add_f32_e32 v74, v76, v74
	;; [unrolled: 1-line block ×3, first 2 shown]
	v_dual_fmamk_f32 v66, v72, 0xbeb58ec6, v73 :: v_dual_add_f32 v63, v63, v71
	v_fma_f32 v71, 0xbeb58ec6, v72, -v73
	s_delay_alu instid0(VALU_DEP_2) | instskip(SKIP_2) | instid1(VALU_DEP_3)
	v_dual_fmamk_f32 v73, v72, 0x3f62ad3f, v60 :: v_dual_add_f32 v66, v67, v66
	v_mul_f32_e32 v67, 0xbf52af12, v69
	v_mul_f32_e32 v69, 0xbf29c268, v69
	v_add_f32_e32 v68, v68, v73
	v_add_f32_e32 v73, v44, v42
	v_fma_f32 v60, 0x3f62ad3f, v72, -v60
	s_delay_alu instid0(VALU_DEP_1) | instskip(SKIP_3) | instid1(VALU_DEP_2)
	v_dual_add_f32 v60, v65, v60 :: v_dual_sub_f32 v65, v43, v45
	v_add_f32_e32 v64, v64, v71
	v_fmamk_f32 v71, v72, 0x3f116cb1, v67
	v_fma_f32 v67, 0x3f116cb1, v72, -v67
	v_dual_mul_f32 v75, 0xbf6f5d39, v65 :: v_dual_add_f32 v70, v70, v71
	v_fmamk_f32 v71, v72, 0xbf3f9e67, v69
	s_delay_alu instid0(VALU_DEP_3) | instskip(SKIP_1) | instid1(VALU_DEP_4)
	v_add_f32_e32 v61, v61, v67
	v_fma_f32 v67, 0xbf3f9e67, v72, -v69
	v_fmamk_f32 v69, v73, 0xbeb58ec6, v75
	s_delay_alu instid0(VALU_DEP_4) | instskip(SKIP_2) | instid1(VALU_DEP_4)
	v_add_f32_e32 v71, v74, v71
	v_fma_f32 v74, 0xbeb58ec6, v73, -v75
	v_mul_f32_e32 v72, 0x3f29c268, v65
	v_add_f32_e32 v57, v57, v69
	s_delay_alu instid0(VALU_DEP_3) | instskip(NEXT) | instid1(VALU_DEP_3)
	v_dual_add_f32 v59, v59, v74 :: v_dual_add_f32 v40, v40, v67
	v_fmamk_f32 v67, v73, 0xbf3f9e67, v72
	v_mul_f32_e32 v69, 0x3eedf032, v65
	v_fma_f32 v72, 0xbf3f9e67, v73, -v72
	v_mul_f32_e32 v74, 0xbf7e222b, v65
	s_delay_alu instid0(VALU_DEP_3) | instskip(SKIP_1) | instid1(VALU_DEP_3)
	v_dual_add_f32 v56, v56, v67 :: v_dual_fmamk_f32 v67, v73, 0x3f62ad3f, v69
	v_fma_f32 v69, 0x3f62ad3f, v73, -v69
	v_dual_add_f32 v63, v63, v72 :: v_dual_fmamk_f32 v72, v73, 0x3df6dbef, v74
	v_fma_f32 v74, 0x3df6dbef, v73, -v74
	s_delay_alu instid0(VALU_DEP_3) | instskip(SKIP_1) | instid1(VALU_DEP_4)
	v_dual_add_f32 v64, v64, v69 :: v_dual_sub_f32 v69, v27, v35
	v_dual_add_f32 v66, v66, v67 :: v_dual_mul_f32 v67, 0x3e750f2a, v65
	v_dual_add_f32 v68, v68, v72 :: v_dual_mul_f32 v65, 0x3f52af12, v65
	s_delay_alu instid0(VALU_DEP_3) | instskip(NEXT) | instid1(VALU_DEP_2)
	v_dual_add_f32 v60, v60, v74 :: v_dual_mul_f32 v75, 0xbf29c268, v69
	v_fmamk_f32 v76, v73, 0x3f116cb1, v65
	s_delay_alu instid0(VALU_DEP_4) | instskip(SKIP_3) | instid1(VALU_DEP_3)
	v_fmamk_f32 v72, v73, 0xbf788fa5, v67
	v_fma_f32 v67, 0xbf788fa5, v73, -v67
	v_add_f32_e32 v74, v34, v26
	v_fma_f32 v65, 0x3f116cb1, v73, -v65
	v_add_f32_e32 v61, v61, v67
	s_delay_alu instid0(VALU_DEP_3) | instskip(NEXT) | instid1(VALU_DEP_3)
	v_fma_f32 v73, 0xbf3f9e67, v74, -v75
	v_dual_fmamk_f32 v67, v74, 0xbf3f9e67, v75 :: v_dual_add_f32 v40, v40, v65
	s_delay_alu instid0(VALU_DEP_2) | instskip(SKIP_1) | instid1(VALU_DEP_3)
	v_add_f32_e32 v59, v59, v73
	v_add_f32_e32 v71, v71, v76
	v_dual_add_f32 v70, v70, v72 :: v_dual_add_f32 v57, v57, v67
	v_mul_f32_e32 v72, 0x3f7e222b, v69
	s_delay_alu instid0(VALU_DEP_1) | instskip(NEXT) | instid1(VALU_DEP_1)
	v_fmamk_f32 v67, v74, 0x3df6dbef, v72
	v_dual_mul_f32 v65, 0xbf52af12, v69 :: v_dual_add_f32 v56, v56, v67
	s_delay_alu instid0(VALU_DEP_1) | instskip(SKIP_2) | instid1(VALU_DEP_3)
	v_fmamk_f32 v75, v74, 0x3f116cb1, v65
	v_mul_f32_e32 v73, 0x3e750f2a, v69
	v_fma_f32 v65, 0x3f116cb1, v74, -v65
	v_add_f32_e32 v66, v66, v75
	s_delay_alu instid0(VALU_DEP_2) | instskip(SKIP_1) | instid1(VALU_DEP_2)
	v_dual_fmamk_f32 v67, v74, 0xbf788fa5, v73 :: v_dual_add_f32 v64, v64, v65
	v_mul_f32_e32 v65, 0x3eedf032, v69
	v_add_f32_e32 v67, v68, v67
	v_fma_f32 v72, 0x3df6dbef, v74, -v72
	v_dual_mul_f32 v68, 0xbf6f5d39, v69 :: v_dual_sub_f32 v69, v19, v23
	s_delay_alu instid0(VALU_DEP_2) | instskip(SKIP_1) | instid1(VALU_DEP_3)
	v_add_f32_e32 v63, v63, v72
	v_fma_f32 v72, 0xbf788fa5, v74, -v73
	v_fmamk_f32 v73, v74, 0xbeb58ec6, v68
	v_fma_f32 v68, 0xbeb58ec6, v74, -v68
	s_delay_alu instid0(VALU_DEP_3) | instskip(SKIP_2) | instid1(VALU_DEP_4)
	v_add_f32_e32 v60, v60, v72
	v_fmamk_f32 v72, v74, 0x3f62ad3f, v65
	v_dual_add_f32 v75, v22, v18 :: v_dual_mul_f32 v76, 0xbe750f2a, v69
	v_add_f32_e32 v40, v40, v68
	s_delay_alu instid0(VALU_DEP_3) | instskip(SKIP_1) | instid1(VALU_DEP_4)
	v_add_f32_e32 v70, v70, v72
	v_fma_f32 v65, 0x3f62ad3f, v74, -v65
	v_fma_f32 v68, 0xbf788fa5, v75, -v76
	v_mul_f32_e32 v74, 0x3f52af12, v69
	s_delay_alu instid0(VALU_DEP_3)
	v_add_f32_e32 v61, v61, v65
	v_add_f32_e32 v65, v71, v73
	v_fmamk_f32 v71, v75, 0xbf788fa5, v76
	v_mul_f32_e32 v72, 0x3eedf032, v69
	v_mul_f32_e32 v73, 0xbf29c268, v69
	v_add_f32_e32 v59, v59, v68
	s_delay_alu instid0(VALU_DEP_4) | instskip(NEXT) | instid1(VALU_DEP_4)
	v_add_f32_e32 v57, v57, v71
	v_fmamk_f32 v71, v75, 0x3f62ad3f, v72
	v_fma_f32 v72, 0x3f62ad3f, v75, -v72
	s_delay_alu instid0(VALU_DEP_2) | instskip(NEXT) | instid1(VALU_DEP_2)
	v_dual_fmamk_f32 v68, v75, 0xbf3f9e67, v73 :: v_dual_add_f32 v71, v56, v71
	v_dual_add_f32 v63, v63, v72 :: v_dual_mul_f32 v72, 0xbf6f5d39, v69
	s_delay_alu instid0(VALU_DEP_2) | instskip(SKIP_1) | instid1(VALU_DEP_1)
	v_add_f32_e32 v66, v66, v68
	v_fmamk_f32 v68, v75, 0x3f116cb1, v74
	v_add_f32_e32 v67, v67, v68
	s_delay_alu instid0(VALU_DEP_4) | instskip(NEXT) | instid1(VALU_DEP_1)
	v_fmamk_f32 v68, v75, 0xbeb58ec6, v72
	v_add_f32_e32 v68, v70, v68
	v_fma_f32 v56, 0xbf3f9e67, v75, -v73
	v_fma_f32 v73, 0x3f116cb1, v75, -v74
	s_delay_alu instid0(VALU_DEP_2) | instskip(SKIP_2) | instid1(VALU_DEP_4)
	v_add_f32_e32 v64, v64, v56
	v_mul_f32_e32 v56, 0x3f7e222b, v69
	v_fma_f32 v69, 0xbeb58ec6, v75, -v72
	v_add_f32_e32 v60, v60, v73
	s_delay_alu instid0(VALU_DEP_2) | instskip(NEXT) | instid1(VALU_DEP_1)
	v_dual_fmamk_f32 v72, v75, 0x3df6dbef, v56 :: v_dual_add_f32 v61, v61, v69
	v_add_f32_e32 v65, v65, v72
	v_fma_f32 v73, 0x3df6dbef, v75, -v56
	v_mad_u32_u24 v56, v58, 52, 0
	s_delay_alu instid0(VALU_DEP_2)
	v_add_f32_e32 v40, v40, v73
	ds_store_2addr_b32 v56, v62, v57 offset1:1
	ds_store_2addr_b32 v56, v71, v66 offset0:2 offset1:3
	ds_store_2addr_b32 v56, v67, v68 offset0:4 offset1:5
	ds_store_2addr_b32 v56, v65, v40 offset0:6 offset1:7
	ds_store_2addr_b32 v56, v61, v60 offset0:8 offset1:9
	ds_store_2addr_b32 v56, v64, v63 offset0:10 offset1:11
	ds_store_b32 v56, v59 offset:48
	s_and_saveexec_b32 s1, s0
	s_cbranch_execz .LBB0_17
; %bb.16:
	v_dual_add_f32 v40, v30, v36 :: v_dual_sub_f32 v57, v31, v37
	v_dual_add_f32 v59, v24, v38 :: v_dual_sub_f32 v60, v25, v39
	v_add_f32_e32 v61, v12, v28
	s_delay_alu instid0(VALU_DEP_3) | instskip(NEXT) | instid1(VALU_DEP_3)
	v_dual_mul_f32 v62, 0xbf788fa5, v40 :: v_dual_sub_f32 v63, v13, v29
	v_mul_f32_e32 v66, 0x3f62ad3f, v59
	v_dual_add_f32 v64, v16, v20 :: v_dual_sub_f32 v65, v17, v21
	s_delay_alu instid0(VALU_DEP_3) | instskip(SKIP_1) | instid1(VALU_DEP_4)
	v_dual_fmamk_f32 v67, v57, 0x3e750f2a, v62 :: v_dual_add_f32 v68, v10, v14
	v_dual_sub_f32 v69, v11, v15 :: v_dual_mul_f32 v70, 0xbf3f9e67, v61
	v_fmamk_f32 v71, v60, 0xbeedf032, v66
	s_delay_alu instid0(VALU_DEP_3) | instskip(SKIP_1) | instid1(VALU_DEP_4)
	v_add_f32_e32 v67, v8, v67
	v_dual_add_f32 v72, v0, v2 :: v_dual_mul_f32 v73, 0x3f116cb1, v64
	v_fmamk_f32 v74, v63, 0x3f29c268, v70
	s_delay_alu instid0(VALU_DEP_3) | instskip(SKIP_3) | instid1(VALU_DEP_4)
	v_dual_fmac_f32 v62, 0xbe750f2a, v57 :: v_dual_add_f32 v67, v67, v71
	v_mul_f32_e32 v71, 0xbeb58ec6, v68
	v_fmac_f32_e32 v66, 0x3eedf032, v60
	v_mul_f32_e32 v78, 0x3f116cb1, v61
	v_add_f32_e32 v62, v8, v62
	v_add_f32_e32 v67, v67, v74
	v_fmamk_f32 v75, v65, 0xbf52af12, v73
	v_sub_f32_e32 v74, v1, v3
	v_mul_f32_e32 v82, 0xbeb58ec6, v61
	v_add_f32_e32 v62, v62, v66
	v_mul_f32_e32 v84, 0xbf788fa5, v61
	v_dual_add_f32 v66, v67, v75 :: v_dual_mul_f32 v67, 0xbf3f9e67, v40
	v_fmac_f32_e32 v70, 0xbf29c268, v63
	s_delay_alu instid0(VALU_DEP_1) | instskip(NEXT) | instid1(VALU_DEP_3)
	v_dual_mul_f32 v75, 0x3df6dbef, v72 :: v_dual_add_f32 v62, v62, v70
	v_fmamk_f32 v70, v57, 0x3f29c268, v67
	v_fmac_f32_e32 v67, 0xbf29c268, v57
	v_fmamk_f32 v76, v69, 0x3f6f5d39, v71
	v_fmac_f32_e32 v71, 0xbf6f5d39, v69
	s_delay_alu instid0(VALU_DEP_3) | instskip(NEXT) | instid1(VALU_DEP_3)
	v_add_f32_e32 v67, v8, v67
	v_dual_fmac_f32 v73, 0x3f52af12, v65 :: v_dual_add_f32 v66, v66, v76
	s_delay_alu instid0(VALU_DEP_1) | instskip(NEXT) | instid1(VALU_DEP_1)
	v_add_f32_e32 v62, v62, v73
	v_dual_add_f32 v62, v62, v71 :: v_dual_fmamk_f32 v71, v63, 0x3f52af12, v78
	v_fmac_f32_e32 v78, 0xbf52af12, v63
	v_mul_f32_e32 v76, 0x3df6dbef, v59
	s_delay_alu instid0(VALU_DEP_1) | instskip(SKIP_1) | instid1(VALU_DEP_1)
	v_fmamk_f32 v73, v60, 0xbf7e222b, v76
	v_fmac_f32_e32 v76, 0x3f7e222b, v60
	v_add_f32_e32 v67, v67, v76
	v_dual_fmamk_f32 v77, v74, 0xbf7e222b, v75 :: v_dual_add_f32 v70, v8, v70
	v_fmac_f32_e32 v75, 0x3f7e222b, v74
	s_delay_alu instid0(VALU_DEP_2) | instskip(NEXT) | instid1(VALU_DEP_3)
	v_dual_add_f32 v67, v67, v78 :: v_dual_add_f32 v66, v66, v77
	v_dual_add_f32 v70, v70, v73 :: v_dual_mul_f32 v73, 0xbf788fa5, v64
	v_mul_f32_e32 v78, 0xbf3f9e67, v59
	s_delay_alu instid0(VALU_DEP_4) | instskip(NEXT) | instid1(VALU_DEP_3)
	v_add_f32_e32 v62, v62, v75
	v_dual_add_f32 v70, v70, v71 :: v_dual_fmamk_f32 v71, v65, 0xbe750f2a, v73
	v_fmac_f32_e32 v73, 0x3e750f2a, v65
	s_delay_alu instid0(VALU_DEP_2) | instskip(NEXT) | instid1(VALU_DEP_2)
	v_dual_mul_f32 v77, 0x3f62ad3f, v68 :: v_dual_add_f32 v70, v70, v71
	v_add_f32_e32 v67, v67, v73
	v_fmamk_f32 v73, v60, 0xbf29c268, v78
	v_mul_f32_e32 v76, 0xbeb58ec6, v72
	s_delay_alu instid0(VALU_DEP_1) | instskip(SKIP_1) | instid1(VALU_DEP_1)
	v_fmamk_f32 v79, v74, 0x3f6f5d39, v76
	v_fmamk_f32 v71, v69, 0xbeedf032, v77
	v_dual_mul_f32 v75, 0xbeb58ec6, v40 :: v_dual_add_f32 v70, v70, v71
	s_delay_alu instid0(VALU_DEP_1) | instskip(NEXT) | instid1(VALU_DEP_1)
	v_dual_fmamk_f32 v71, v57, 0x3f6f5d39, v75 :: v_dual_add_f32 v70, v70, v79
	v_add_f32_e32 v71, v8, v71
	v_mul_f32_e32 v79, 0xbf788fa5, v68
	s_delay_alu instid0(VALU_DEP_2) | instskip(SKIP_3) | instid1(VALU_DEP_3)
	v_add_f32_e32 v71, v71, v73
	v_dual_fmac_f32 v75, 0xbf6f5d39, v57 :: v_dual_fmac_f32 v76, 0xbf6f5d39, v74
	v_mul_f32_e32 v80, 0x3f62ad3f, v61
	v_mul_f32_e32 v61, 0x3df6dbef, v61
	v_add_f32_e32 v75, v8, v75
	v_fmac_f32_e32 v77, 0x3eedf032, v69
	s_delay_alu instid0(VALU_DEP_4) | instskip(NEXT) | instid1(VALU_DEP_2)
	v_fmamk_f32 v73, v63, 0xbeedf032, v80
	v_dual_fmac_f32 v80, 0x3eedf032, v63 :: v_dual_add_f32 v67, v67, v77
	v_mul_f32_e32 v77, 0x3df6dbef, v64
	s_delay_alu instid0(VALU_DEP_3) | instskip(NEXT) | instid1(VALU_DEP_3)
	v_add_f32_e32 v71, v71, v73
	v_add_f32_e32 v67, v67, v76
	s_delay_alu instid0(VALU_DEP_3) | instskip(SKIP_3) | instid1(VALU_DEP_4)
	v_fmamk_f32 v73, v65, 0x3f7e222b, v77
	v_fmac_f32_e32 v78, 0x3f29c268, v60
	v_mul_f32_e32 v76, 0x3df6dbef, v40
	v_fmac_f32_e32 v77, 0xbf7e222b, v65
	v_add_f32_e32 v71, v71, v73
	s_delay_alu instid0(VALU_DEP_4) | instskip(NEXT) | instid1(VALU_DEP_1)
	v_add_f32_e32 v75, v75, v78
	v_dual_add_f32 v75, v75, v80 :: v_dual_mul_f32 v80, 0xbf788fa5, v59
	v_fmamk_f32 v73, v69, 0xbe750f2a, v79
	v_fmac_f32_e32 v79, 0x3e750f2a, v69
	s_delay_alu instid0(VALU_DEP_3) | instskip(NEXT) | instid1(VALU_DEP_4)
	v_add_f32_e32 v75, v75, v77
	v_fmamk_f32 v77, v60, 0x3e750f2a, v80
	v_fmac_f32_e32 v80, 0xbe750f2a, v60
	v_dual_mul_f32 v78, 0x3f116cb1, v72 :: v_dual_add_f32 v71, v71, v73
	v_fmamk_f32 v73, v57, 0x3f7e222b, v76
	v_fmac_f32_e32 v76, 0xbf7e222b, v57
	s_delay_alu instid0(VALU_DEP_3) | instskip(NEXT) | instid1(VALU_DEP_3)
	v_fmamk_f32 v81, v74, 0xbf52af12, v78
	v_dual_fmac_f32 v78, 0x3f52af12, v74 :: v_dual_add_f32 v73, v8, v73
	s_delay_alu instid0(VALU_DEP_3) | instskip(SKIP_1) | instid1(VALU_DEP_4)
	v_dual_add_f32 v76, v8, v76 :: v_dual_add_f32 v75, v75, v79
	v_mul_f32_e32 v79, 0x3f62ad3f, v64
	v_add_f32_e32 v71, v71, v81
	s_delay_alu instid0(VALU_DEP_4) | instskip(NEXT) | instid1(VALU_DEP_4)
	v_add_f32_e32 v73, v73, v77
	v_dual_fmamk_f32 v77, v63, 0xbf6f5d39, v82 :: v_dual_add_f32 v76, v76, v80
	v_fmac_f32_e32 v82, 0x3f6f5d39, v63
	v_mul_f32_e32 v81, 0x3f116cb1, v68
	v_dual_mul_f32 v80, 0xbf3f9e67, v72 :: v_dual_add_f32 v75, v75, v78
	v_mul_f32_e32 v78, 0x3f116cb1, v40
	s_delay_alu instid0(VALU_DEP_4)
	v_add_f32_e32 v76, v76, v82
	v_dual_mul_f32 v82, 0xbeb58ec6, v59 :: v_dual_add_f32 v73, v73, v77
	v_fmamk_f32 v77, v65, 0xbeedf032, v79
	v_mul_f32_e32 v40, 0x3f62ad3f, v40
	v_fmac_f32_e32 v79, 0x3eedf032, v65
	v_fmamk_f32 v83, v74, 0x3f29c268, v80
	v_fmac_f32_e32 v80, 0xbf29c268, v74
	v_mul_f32_e32 v59, 0x3f116cb1, v59
	s_delay_alu instid0(VALU_DEP_4) | instskip(SKIP_4) | instid1(VALU_DEP_2)
	v_add_f32_e32 v76, v76, v79
	v_fmamk_f32 v79, v60, 0x3f6f5d39, v82
	v_dual_fmac_f32 v82, 0xbf6f5d39, v60 :: v_dual_add_f32 v73, v73, v77
	v_fmamk_f32 v77, v69, 0x3f52af12, v81
	v_fmac_f32_e32 v81, 0xbf52af12, v69
	v_add_f32_e32 v73, v73, v77
	v_fmamk_f32 v77, v57, 0x3f52af12, v78
	v_fmac_f32_e32 v78, 0xbf52af12, v57
	s_delay_alu instid0(VALU_DEP_4) | instskip(NEXT) | instid1(VALU_DEP_2)
	v_add_f32_e32 v76, v76, v81
	v_add_f32_e32 v78, v8, v78
	s_delay_alu instid0(VALU_DEP_2) | instskip(NEXT) | instid1(VALU_DEP_2)
	v_add_f32_e32 v76, v76, v80
	v_add_f32_e32 v78, v78, v82
	;; [unrolled: 1-line block ×3, first 2 shown]
	s_delay_alu instid0(VALU_DEP_1) | instskip(SKIP_2) | instid1(VALU_DEP_3)
	v_add_f32_e32 v80, v82, v24
	v_fmamk_f32 v82, v57, 0x3eedf032, v40
	v_fmac_f32_e32 v40, 0xbeedf032, v57
	v_add_f32_e32 v80, v80, v12
	s_delay_alu instid0(VALU_DEP_3) | instskip(SKIP_4) | instid1(VALU_DEP_4)
	v_add_f32_e32 v57, v8, v82
	v_fmamk_f32 v82, v60, 0x3f52af12, v59
	v_add_f32_e32 v77, v8, v77
	v_fmac_f32_e32 v59, 0xbf52af12, v60
	v_fmamk_f32 v60, v63, 0x3f7e222b, v61
	v_dual_add_f32 v80, v80, v16 :: v_dual_add_f32 v57, v57, v82
	v_dual_add_f32 v8, v8, v40 :: v_dual_fmac_f32 v61, 0xbf7e222b, v63
	s_delay_alu instid0(VALU_DEP_2) | instskip(NEXT) | instid1(VALU_DEP_2)
	v_dual_add_f32 v80, v80, v10 :: v_dual_add_f32 v57, v57, v60
	v_add_f32_e32 v8, v8, v59
	v_mul_f32_e32 v60, 0xbf3f9e67, v68
	s_delay_alu instid0(VALU_DEP_3) | instskip(SKIP_3) | instid1(VALU_DEP_2)
	v_add_f32_e32 v40, v80, v0
	v_mul_f32_e32 v81, 0xbf3f9e67, v64
	v_mul_f32_e32 v64, 0xbeb58ec6, v64
	v_dual_add_f32 v8, v8, v61 :: v_dual_mul_f32 v61, 0xbf788fa5, v72
	v_dual_add_f32 v40, v40, v2 :: v_dual_fmamk_f32 v59, v65, 0x3f6f5d39, v64
	v_fmac_f32_e32 v64, 0xbf6f5d39, v65
	s_delay_alu instid0(VALU_DEP_2) | instskip(SKIP_4) | instid1(VALU_DEP_4)
	v_dual_add_f32 v40, v14, v40 :: v_dual_add_f32 v77, v77, v79
	v_fmamk_f32 v79, v63, 0x3e750f2a, v84
	v_fmac_f32_e32 v84, 0xbe750f2a, v63
	v_add_f32_e32 v73, v73, v83
	v_mul_f32_e32 v83, 0x3df6dbef, v68
	v_dual_add_f32 v40, v20, v40 :: v_dual_add_f32 v77, v77, v79
	v_fmamk_f32 v79, v65, 0xbf29c268, v81
	v_add_f32_e32 v57, v57, v59
	v_dual_fmamk_f32 v59, v69, 0x3f29c268, v60 :: v_dual_add_f32 v8, v8, v64
	s_delay_alu instid0(VALU_DEP_3) | instskip(SKIP_3) | instid1(VALU_DEP_3)
	v_dual_add_f32 v77, v77, v79 :: v_dual_add_nc_u32 v64, 0x17d4, v56
	v_fmamk_f32 v79, v69, 0xbf7e222b, v83
	v_fmac_f32_e32 v60, 0xbf29c268, v69
	v_dual_add_f32 v78, v78, v84 :: v_dual_fmac_f32 v81, 0x3f29c268, v65
	v_dual_add_f32 v40, v28, v40 :: v_dual_add_f32 v77, v77, v79
	v_dual_add_f32 v57, v57, v59 :: v_dual_add_nc_u32 v68, 0x17e4, v56
	s_delay_alu instid0(VALU_DEP_4) | instskip(SKIP_3) | instid1(VALU_DEP_3)
	v_dual_fmamk_f32 v59, v74, 0x3e750f2a, v61 :: v_dual_add_f32 v8, v8, v60
	v_fmac_f32_e32 v61, 0xbe750f2a, v74
	v_dual_mul_f32 v79, 0x3f62ad3f, v72 :: v_dual_add_f32 v78, v78, v81
	v_add_f32_e32 v40, v38, v40
	v_dual_add_f32 v8, v8, v61 :: v_dual_add_nc_u32 v65, 0x17dc, v56
	s_delay_alu instid0(VALU_DEP_3) | instskip(NEXT) | instid1(VALU_DEP_3)
	v_fmamk_f32 v81, v74, 0xbeedf032, v79
	v_dual_fmac_f32 v79, 0x3eedf032, v74 :: v_dual_add_f32 v40, v36, v40
	v_add_nc_u32_e32 v61, 0x17cc, v56
	v_add_f32_e32 v57, v57, v59
	s_delay_alu instid0(VALU_DEP_4) | instskip(SKIP_2) | instid1(VALU_DEP_2)
	v_add_f32_e32 v60, v77, v81
	v_fmac_f32_e32 v83, 0x3f7e222b, v69
	v_add_nc_u32_e32 v69, 0x17ec, v56
	v_dual_add_f32 v78, v78, v83 :: v_dual_add_nc_u32 v59, 0x17c4, v56
	s_delay_alu instid0(VALU_DEP_1)
	v_add_f32_e32 v63, v78, v79
	ds_store_2addr_b32 v61, v63, v76 offset1:1
	ds_store_2addr_b32 v64, v75, v67 offset1:1
	;; [unrolled: 1-line block ×6, first 2 shown]
	ds_store_b32 v56, v57 offset:6132
.LBB0_17:
	s_wait_alu 0xfffe
	s_or_b32 exec_lo, exec_lo, s1
	v_add_f32_e32 v8, v41, v49
	v_sub_f32_e32 v46, v46, v54
	v_sub_f32_e32 v40, v48, v52
	;; [unrolled: 1-line block ×4, first 2 shown]
	global_wb scope:SCOPE_SE
	s_wait_dscnt 0x0
	v_dual_mul_f32 v61, 0xbf6f5d39, v46 :: v_dual_add_f32 v48, v53, v49
	v_add_f32_e32 v49, v55, v47
	v_dual_add_f32 v8, v8, v47 :: v_dual_mul_f32 v59, 0xbf29c268, v40
	v_mul_f32_e32 v57, 0xbf6f5d39, v40
	v_mul_f32_e32 v47, 0xbeedf032, v40
	s_delay_alu instid0(VALU_DEP_3) | instskip(NEXT) | instid1(VALU_DEP_4)
	v_dual_mul_f32 v63, 0x3f29c268, v46 :: v_dual_add_f32 v8, v8, v33
	v_fma_f32 v68, 0xbf3f9e67, v48, -v59
	s_delay_alu instid0(VALU_DEP_4) | instskip(NEXT) | instid1(VALU_DEP_4)
	v_fma_f32 v67, 0xbeb58ec6, v48, -v57
	v_fma_f32 v64, 0x3f62ad3f, v48, -v47
	s_delay_alu instid0(VALU_DEP_4) | instskip(SKIP_2) | instid1(VALU_DEP_3)
	v_dual_fmac_f32 v47, 0x3f62ad3f, v48 :: v_dual_add_f32 v8, v8, v43
	v_mul_f32_e32 v52, 0xbf52af12, v40
	v_fmac_f32_e32 v57, 0xbeb58ec6, v48
	v_dual_mul_f32 v60, 0xbf52af12, v46 :: v_dual_add_f32 v47, v47, v41
	s_delay_alu instid0(VALU_DEP_4) | instskip(NEXT) | instid1(VALU_DEP_4)
	v_add_f32_e32 v8, v8, v27
	v_fma_f32 v65, 0x3f116cb1, v48, -v52
	v_mul_f32_e32 v54, 0xbf7e222b, v40
	v_dual_mul_f32 v40, 0xbe750f2a, v40 :: v_dual_add_f32 v67, v67, v41
	s_delay_alu instid0(VALU_DEP_4) | instskip(SKIP_1) | instid1(VALU_DEP_3)
	v_dual_add_f32 v8, v8, v19 :: v_dual_fmac_f32 v59, 0xbf3f9e67, v48
	v_fma_f32 v70, 0xbeb58ec6, v49, -v61
	v_fma_f32 v69, 0xbf788fa5, v48, -v40
	v_fmac_f32_e32 v52, 0x3f116cb1, v48
	s_delay_alu instid0(VALU_DEP_4) | instskip(SKIP_2) | instid1(VALU_DEP_3)
	v_dual_add_f32 v8, v8, v23 :: v_dual_fmac_f32 v61, 0xbeb58ec6, v49
	v_dual_fmac_f32 v40, 0xbf788fa5, v48 :: v_dual_add_f32 v33, v51, v33
	v_add_f32_e32 v64, v64, v41
	v_dual_add_f32 v8, v35, v8 :: v_dual_add_f32 v65, v65, v41
	v_fma_f32 v66, 0x3df6dbef, v48, -v54
	v_dual_add_f32 v57, v57, v41 :: v_dual_fmac_f32 v54, 0x3df6dbef, v48
	v_fma_f32 v48, 0x3f116cb1, v49, -v60
	v_fmac_f32_e32 v60, 0x3f116cb1, v49
	v_sub_f32_e32 v32, v32, v50
	v_add_f32_e32 v66, v66, v41
	v_dual_mul_f32 v62, 0xbe750f2a, v46 :: v_dual_add_f32 v59, v59, v41
	s_delay_alu instid0(VALU_DEP_4)
	v_add_f32_e32 v47, v47, v60
	v_fma_f32 v60, 0xbf3f9e67, v49, -v63
	v_dual_fmac_f32 v63, 0xbf3f9e67, v49 :: v_dual_add_f32 v8, v45, v8
	v_add_f32_e32 v40, v40, v41
	s_wait_kmcnt 0x0
	s_barrier_signal -1
	s_barrier_wait -1
	v_dual_add_f32 v57, v57, v63 :: v_dual_add_f32 v8, v51, v8
	v_dual_mul_f32 v51, 0xbf7e222b, v32 :: v_dual_add_f32 v54, v54, v41
	v_add_f32_e32 v43, v45, v43
	global_inv scope:SCOPE_SE
	v_dual_add_f32 v8, v55, v8 :: v_dual_add_f32 v55, v69, v41
	v_add_f32_e32 v52, v52, v41
	v_add_f32_e32 v68, v68, v41
	;; [unrolled: 1-line block ×3, first 2 shown]
	s_delay_alu instid0(VALU_DEP_4)
	v_add_f32_e32 v53, v53, v8
	v_fma_f32 v48, 0xbf788fa5, v49, -v62
	v_dual_add_f32 v52, v52, v61 :: v_dual_mul_f32 v61, 0x3f7e222b, v46
	v_fmac_f32_e32 v62, 0xbf788fa5, v49
	v_mul_f32_e32 v46, 0x3eedf032, v46
	v_mul_f32_e32 v45, 0xbf6f5d39, v42
	v_add_f32_e32 v27, v35, v27
	v_fma_f32 v50, 0x3df6dbef, v49, -v61
	v_dual_fmac_f32 v61, 0x3df6dbef, v49 :: v_dual_add_f32 v8, v65, v70
	v_add_f32_e32 v54, v54, v62
	v_fma_f32 v62, 0x3f62ad3f, v49, -v46
	v_fmac_f32_e32 v46, 0x3f62ad3f, v49
	s_delay_alu instid0(VALU_DEP_4) | instskip(SKIP_4) | instid1(VALU_DEP_4)
	v_add_f32_e32 v49, v59, v61
	v_fma_f32 v59, 0x3df6dbef, v33, -v51
	v_mul_f32_e32 v61, 0xbe750f2a, v32
	v_dual_add_f32 v48, v66, v48 :: v_dual_fmac_f32 v51, 0x3df6dbef, v33
	v_add_f32_e32 v55, v55, v62
	v_dual_add_f32 v41, v41, v59 :: v_dual_add_f32 v40, v40, v46
	s_delay_alu instid0(VALU_DEP_4) | instskip(SKIP_3) | instid1(VALU_DEP_4)
	v_fma_f32 v46, 0xbf788fa5, v33, -v61
	v_mul_f32_e32 v59, 0x3f6f5d39, v32
	v_fmac_f32_e32 v61, 0xbf788fa5, v33
	v_add_f32_e32 v47, v47, v51
	v_dual_mul_f32 v51, 0x3eedf032, v32 :: v_dual_add_f32 v8, v8, v46
	s_delay_alu instid0(VALU_DEP_4) | instskip(NEXT) | instid1(VALU_DEP_4)
	v_fma_f32 v46, 0xbeb58ec6, v33, -v59
	v_add_f32_e32 v52, v52, v61
	v_dual_add_f32 v60, v67, v60 :: v_dual_fmac_f32 v59, 0xbeb58ec6, v33
	s_delay_alu instid0(VALU_DEP_4) | instskip(NEXT) | instid1(VALU_DEP_4)
	v_fma_f32 v61, 0x3f62ad3f, v33, -v51
	v_dual_fmac_f32 v51, 0x3f62ad3f, v33 :: v_dual_add_f32 v46, v48, v46
	v_mul_f32_e32 v48, 0xbf52af12, v32
	v_add_f32_e32 v50, v68, v50
	s_delay_alu instid0(VALU_DEP_3) | instskip(SKIP_1) | instid1(VALU_DEP_4)
	v_dual_mul_f32 v32, 0xbf29c268, v32 :: v_dual_add_f32 v51, v57, v51
	v_add_f32_e32 v54, v54, v59
	v_fma_f32 v44, 0x3f116cb1, v33, -v48
	v_fmac_f32_e32 v48, 0x3f116cb1, v33
	v_dual_sub_f32 v26, v26, v34 :: v_dual_add_f32 v59, v60, v61
	s_delay_alu instid0(VALU_DEP_3) | instskip(SKIP_1) | instid1(VALU_DEP_4)
	v_add_f32_e32 v44, v50, v44
	v_fma_f32 v50, 0xbf3f9e67, v33, -v32
	v_dual_fmac_f32 v32, 0xbf3f9e67, v33 :: v_dual_add_f32 v33, v49, v48
	v_fma_f32 v48, 0xbeb58ec6, v43, -v45
	v_mul_f32_e32 v49, 0x3f29c268, v42
	s_delay_alu instid0(VALU_DEP_3) | instskip(NEXT) | instid1(VALU_DEP_3)
	v_dual_fmac_f32 v45, 0xbeb58ec6, v43 :: v_dual_add_f32 v32, v40, v32
	v_dual_mul_f32 v35, 0xbf29c268, v26 :: v_dual_add_f32 v40, v41, v48
	s_delay_alu instid0(VALU_DEP_3) | instskip(SKIP_1) | instid1(VALU_DEP_4)
	v_fma_f32 v41, 0xbf3f9e67, v43, -v49
	v_fmac_f32_e32 v49, 0xbf3f9e67, v43
	v_add_f32_e32 v45, v47, v45
	s_delay_alu instid0(VALU_DEP_3) | instskip(NEXT) | instid1(VALU_DEP_3)
	v_add_f32_e32 v8, v8, v41
	v_dual_add_f32 v49, v52, v49 :: v_dual_mul_f32 v48, 0x3eedf032, v42
	v_mul_f32_e32 v47, 0xbf7e222b, v42
	v_add_f32_e32 v50, v55, v50
	s_delay_alu instid0(VALU_DEP_3) | instskip(NEXT) | instid1(VALU_DEP_3)
	v_fma_f32 v41, 0x3f62ad3f, v43, -v48
	v_fma_f32 v52, 0x3df6dbef, v43, -v47
	v_fmac_f32_e32 v47, 0x3df6dbef, v43
	s_delay_alu instid0(VALU_DEP_3) | instskip(NEXT) | instid1(VALU_DEP_2)
	v_dual_add_f32 v41, v46, v41 :: v_dual_fmac_f32 v48, 0x3f62ad3f, v43
	v_dual_add_f32 v47, v51, v47 :: v_dual_mul_f32 v46, 0x3e750f2a, v42
	s_delay_alu instid0(VALU_DEP_4) | instskip(NEXT) | instid1(VALU_DEP_2)
	v_add_f32_e32 v52, v59, v52
	v_fma_f32 v34, 0xbf788fa5, v43, -v46
	v_fmac_f32_e32 v46, 0xbf788fa5, v43
	s_delay_alu instid0(VALU_DEP_2) | instskip(NEXT) | instid1(VALU_DEP_2)
	v_add_f32_e32 v34, v44, v34
	v_add_f32_e32 v33, v33, v46
	v_mul_f32_e32 v42, 0x3f52af12, v42
	s_delay_alu instid0(VALU_DEP_1) | instskip(SKIP_2) | instid1(VALU_DEP_3)
	v_fma_f32 v44, 0x3f116cb1, v43, -v42
	v_fmac_f32_e32 v42, 0x3f116cb1, v43
	v_fma_f32 v43, 0xbf3f9e67, v27, -v35
	v_dual_fmac_f32 v35, 0xbf3f9e67, v27 :: v_dual_add_f32 v44, v50, v44
	v_mul_f32_e32 v46, 0x3f7e222b, v26
	s_delay_alu instid0(VALU_DEP_4) | instskip(NEXT) | instid1(VALU_DEP_4)
	v_add_f32_e32 v32, v32, v42
	v_dual_add_f32 v40, v40, v43 :: v_dual_mul_f32 v43, 0xbf52af12, v26
	s_delay_alu instid0(VALU_DEP_4) | instskip(NEXT) | instid1(VALU_DEP_4)
	v_add_f32_e32 v35, v45, v35
	v_fma_f32 v42, 0x3df6dbef, v27, -v46
	s_delay_alu instid0(VALU_DEP_1) | instskip(NEXT) | instid1(VALU_DEP_4)
	v_add_f32_e32 v8, v8, v42
	v_fma_f32 v42, 0x3f116cb1, v27, -v43
	v_fmac_f32_e32 v46, 0x3df6dbef, v27
	v_fmac_f32_e32 v43, 0x3f116cb1, v27
	v_mul_f32_e32 v45, 0x3e750f2a, v26
	v_mul_f32_e32 v22, 0xbf6f5d39, v26
	v_dual_add_f32 v41, v41, v42 :: v_dual_add_f32 v48, v54, v48
	v_add_f32_e32 v46, v49, v46
	s_delay_alu instid0(VALU_DEP_4) | instskip(SKIP_1) | instid1(VALU_DEP_4)
	v_fma_f32 v49, 0xbf788fa5, v27, -v45
	v_fmac_f32_e32 v45, 0xbf788fa5, v27
	v_dual_add_f32 v42, v48, v43 :: v_dual_mul_f32 v43, 0x3eedf032, v26
	s_delay_alu instid0(VALU_DEP_3)
	v_add_f32_e32 v48, v52, v49
	v_add_f32_e32 v52, v23, v19
	v_fma_f32 v23, 0xbeb58ec6, v27, -v22
	v_add_f32_e32 v45, v47, v45
	v_fma_f32 v26, 0x3f62ad3f, v27, -v43
	v_fmac_f32_e32 v43, 0x3f62ad3f, v27
	s_delay_alu instid0(VALU_DEP_4) | instskip(SKIP_1) | instid1(VALU_DEP_3)
	v_add_f32_e32 v57, v44, v23
	v_mad_i32_i24 v44, 0xffffffd0, v58, v56
	v_dual_add_f32 v54, v34, v26 :: v_dual_add_f32 v55, v33, v43
	s_delay_alu instid0(VALU_DEP_2)
	v_add_nc_u32_e32 v47, 0x200, v44
	v_add_nc_u32_e32 v49, 0xa00, v44
	v_mul_f32_e32 v70, 0x3f7e222b, v18
	v_mul_f32_e32 v19, 0xbe750f2a, v18
	;; [unrolled: 1-line block ×4, first 2 shown]
	v_add_nc_u32_e32 v50, 0x1400, v44
	v_fma_f32 v71, 0x3df6dbef, v52, -v70
	v_fma_f32 v26, 0xbf788fa5, v52, -v19
	v_fmac_f32_e32 v19, 0xbf788fa5, v52
	v_add_nc_u32_e32 v51, 0xe00, v44
	s_delay_alu instid0(VALU_DEP_4) | instskip(SKIP_1) | instid1(VALU_DEP_4)
	v_dual_mul_f32 v66, 0xbf6f5d39, v18 :: v_dual_add_f32 v57, v57, v71
	v_fmac_f32_e32 v22, 0xbeb58ec6, v27
	v_dual_add_f32 v61, v35, v19 :: v_dual_add_f32 v60, v40, v26
	s_delay_alu instid0(VALU_DEP_2) | instskip(SKIP_1) | instid1(VALU_DEP_1)
	v_add_f32_e32 v59, v32, v22
	v_mul_f32_e32 v22, 0xbf29c268, v18
	v_fma_f32 v19, 0xbf3f9e67, v52, -v22
	s_delay_alu instid0(VALU_DEP_1) | instskip(NEXT) | instid1(VALU_DEP_1)
	v_dual_fmac_f32 v22, 0xbf3f9e67, v52 :: v_dual_add_f32 v65, v41, v19
	v_add_f32_e32 v67, v42, v22
	v_fma_f32 v26, 0x3f62ad3f, v52, -v23
	v_fmac_f32_e32 v23, 0x3f62ad3f, v52
	v_fma_f32 v69, 0xbeb58ec6, v52, -v66
	v_fmac_f32_e32 v70, 0x3df6dbef, v52
	s_delay_alu instid0(VALU_DEP_4)
	v_dual_fmac_f32 v66, 0xbeb58ec6, v52 :: v_dual_add_f32 v63, v8, v26
	v_fma_f32 v8, 0x3f116cb1, v52, -v62
	v_add_f32_e32 v64, v46, v23
	v_add_nc_u32_e32 v46, 0x600, v44
	ds_load_2addr_b32 v[22:23], v44 offset1:117
	ds_load_2addr_b32 v[18:19], v46 offset0:84 offset1:201
	v_add_f32_e32 v68, v48, v8
	v_add_nc_u32_e32 v48, 0x1200, v44
	ds_load_2addr_b32 v[42:43], v48 offset0:18 offset1:135
	ds_load_2addr_b32 v[40:41], v49 offset0:62 offset1:179
	;; [unrolled: 1-line block ×5, first 2 shown]
	ds_load_b32 v8, v44 offset:6552
	v_fmac_f32_e32 v62, 0x3f116cb1, v52
	v_dual_add_f32 v54, v54, v69 :: v_dual_add_f32 v59, v59, v70
	v_add_f32_e32 v55, v55, v66
	global_wb scope:SCOPE_SE
	s_wait_dscnt 0x0
	v_add_f32_e32 v52, v45, v62
	v_add_nc_u32_e32 v45, 0x75, v58
	s_barrier_signal -1
	s_barrier_wait -1
	global_inv scope:SCOPE_SE
	ds_store_2addr_b32 v56, v53, v60 offset1:1
	ds_store_2addr_b32 v56, v63, v65 offset0:2 offset1:3
	ds_store_2addr_b32 v56, v68, v54 offset0:4 offset1:5
	;; [unrolled: 1-line block ×5, first 2 shown]
	ds_store_b32 v56, v61 offset:48
	s_and_saveexec_b32 s1, s0
	s_cbranch_execz .LBB0_19
; %bb.18:
	v_dual_add_f32 v52, v9, v31 :: v_dual_add_f32 v31, v31, v37
	v_sub_f32_e32 v30, v30, v36
	v_add_f32_e32 v36, v25, v39
	s_delay_alu instid0(VALU_DEP_3) | instskip(SKIP_1) | instid1(VALU_DEP_4)
	v_dual_sub_f32 v10, v10, v14 :: v_dual_add_f32 v25, v52, v25
	v_sub_f32_e32 v24, v24, v38
	v_dual_mul_f32 v53, 0xbf7e222b, v30 :: v_dual_sub_f32 v12, v12, v28
	s_delay_alu instid0(VALU_DEP_3) | instskip(SKIP_1) | instid1(VALU_DEP_4)
	v_dual_sub_f32 v16, v16, v20 :: v_dual_add_f32 v25, v25, v13
	v_mul_f32_e32 v38, 0xbeedf032, v30
	v_dual_mul_f32 v54, 0xbf6f5d39, v30 :: v_dual_mul_f32 v57, 0xbf6f5d39, v24
	v_mul_f32_e32 v59, 0xbe750f2a, v24
	s_delay_alu instid0(VALU_DEP_4) | instskip(NEXT) | instid1(VALU_DEP_4)
	v_dual_add_f32 v25, v25, v17 :: v_dual_mul_f32 v52, 0xbf52af12, v30
	v_fma_f32 v61, 0x3f62ad3f, v31, -v38
	v_fma_f32 v63, 0x3df6dbef, v31, -v53
	;; [unrolled: 1-line block ×3, first 2 shown]
	s_delay_alu instid0(VALU_DEP_4) | instskip(SKIP_2) | instid1(VALU_DEP_3)
	v_dual_add_f32 v25, v25, v11 :: v_dual_mul_f32 v56, 0xbf52af12, v24
	v_fma_f32 v62, 0x3f116cb1, v31, -v52
	v_dual_fmac_f32 v52, 0x3f116cb1, v31 :: v_dual_add_f32 v61, v9, v61
	v_dual_add_f32 v25, v25, v1 :: v_dual_mul_f32 v60, 0x3f29c268, v24
	s_delay_alu instid0(VALU_DEP_2) | instskip(NEXT) | instid1(VALU_DEP_2)
	v_dual_mul_f32 v55, 0xbf29c268, v30 :: v_dual_add_f32 v52, v9, v52
	v_dual_mul_f32 v30, 0xbe750f2a, v30 :: v_dual_add_f32 v25, v25, v3
	v_fmac_f32_e32 v38, 0x3f62ad3f, v31
	v_fmac_f32_e32 v54, 0xbeb58ec6, v31
	s_delay_alu instid0(VALU_DEP_4) | instskip(NEXT) | instid1(VALU_DEP_4)
	v_fma_f32 v65, 0xbf3f9e67, v31, -v55
	v_fma_f32 v66, 0xbf788fa5, v31, -v30
	v_dual_add_f32 v25, v15, v25 :: v_dual_fmac_f32 v30, 0xbf788fa5, v31
	v_dual_fmac_f32 v53, 0x3df6dbef, v31 :: v_dual_add_f32 v38, v9, v38
	v_dual_fmac_f32 v55, 0xbf3f9e67, v31 :: v_dual_add_f32 v62, v9, v62
	s_delay_alu instid0(VALU_DEP_3)
	v_add_f32_e32 v25, v21, v25
	v_fma_f32 v31, 0x3f116cb1, v36, -v56
	v_dual_fmac_f32 v56, 0x3f116cb1, v36 :: v_dual_add_f32 v63, v9, v63
	v_fma_f32 v67, 0xbeb58ec6, v36, -v57
	v_fmac_f32_e32 v57, 0xbeb58ec6, v36
	v_add_f32_e32 v25, v29, v25
	v_add_f32_e32 v53, v9, v53
	;; [unrolled: 1-line block ×4, first 2 shown]
	v_dual_add_f32 v55, v9, v55 :: v_dual_add_f32 v52, v52, v57
	v_add_f32_e32 v25, v39, v25
	v_add_f32_e32 v65, v9, v65
	;; [unrolled: 1-line block ×4, first 2 shown]
	v_dual_add_f32 v30, v61, v31 :: v_dual_add_f32 v31, v38, v56
	v_fma_f32 v38, 0xbf788fa5, v36, -v59
	v_fmac_f32_e32 v59, 0xbf788fa5, v36
	v_mul_f32_e32 v57, 0x3f7e222b, v24
	v_fma_f32 v56, 0xbf3f9e67, v36, -v60
	v_dual_add_f32 v25, v37, v25 :: v_dual_mul_f32 v24, 0x3eedf032, v24
	v_add_f32_e32 v13, v13, v29
	s_delay_alu instid0(VALU_DEP_4) | instskip(NEXT) | instid1(VALU_DEP_4)
	v_fma_f32 v28, 0x3df6dbef, v36, -v57
	v_dual_add_f32 v56, v64, v56 :: v_dual_add_f32 v37, v62, v67
	v_dual_fmac_f32 v60, 0xbf3f9e67, v36 :: v_dual_add_f32 v53, v53, v59
	s_delay_alu instid0(VALU_DEP_3)
	v_add_f32_e32 v28, v65, v28
	v_fmac_f32_e32 v57, 0x3df6dbef, v36
	v_mul_f32_e32 v29, 0xbf7e222b, v12
	v_fma_f32 v59, 0x3f62ad3f, v36, -v24
	v_fmac_f32_e32 v24, 0x3f62ad3f, v36
	v_add_f32_e32 v38, v63, v38
	v_add_f32_e32 v36, v55, v57
	v_fma_f32 v55, 0x3df6dbef, v13, -v29
	v_mul_f32_e32 v57, 0xbe750f2a, v12
	v_add_f32_e32 v9, v9, v24
	v_dual_add_f32 v54, v54, v60 :: v_dual_add_f32 v17, v17, v21
	s_delay_alu instid0(VALU_DEP_4) | instskip(NEXT) | instid1(VALU_DEP_4)
	v_add_f32_e32 v24, v30, v55
	v_fma_f32 v30, 0xbf788fa5, v13, -v57
	v_mul_f32_e32 v55, 0x3f6f5d39, v12
	v_dual_add_f32 v11, v11, v15 :: v_dual_mul_f32 v14, 0x3f52af12, v16
	v_sub_f32_e32 v0, v0, v2
	s_delay_alu instid0(VALU_DEP_4) | instskip(NEXT) | instid1(VALU_DEP_4)
	v_add_f32_e32 v30, v37, v30
	v_fma_f32 v37, 0xbeb58ec6, v13, -v55
	v_add_f32_e32 v1, v1, v3
	s_delay_alu instid0(VALU_DEP_2) | instskip(SKIP_1) | instid1(VALU_DEP_2)
	v_dual_add_f32 v37, v38, v37 :: v_dual_mul_f32 v38, 0xbf52af12, v12
	v_fmac_f32_e32 v29, 0x3df6dbef, v13
	v_fma_f32 v20, 0x3f116cb1, v13, -v38
	v_fmac_f32_e32 v38, 0x3f116cb1, v13
	s_delay_alu instid0(VALU_DEP_2) | instskip(NEXT) | instid1(VALU_DEP_2)
	v_dual_add_f32 v29, v31, v29 :: v_dual_add_f32 v20, v28, v20
	v_dual_add_f32 v36, v36, v38 :: v_dual_fmac_f32 v57, 0xbf788fa5, v13
	v_add_f32_e32 v39, v39, v59
	v_mul_f32_e32 v21, 0xbf6f5d39, v16
	v_mul_f32_e32 v38, 0x3f29c268, v16
	s_delay_alu instid0(VALU_DEP_4) | instskip(SKIP_1) | instid1(VALU_DEP_2)
	v_dual_add_f32 v52, v52, v57 :: v_dual_mul_f32 v31, 0x3eedf032, v12
	v_mul_f32_e32 v12, 0xbf29c268, v12
	v_fma_f32 v57, 0x3f62ad3f, v13, -v31
	s_delay_alu instid0(VALU_DEP_2) | instskip(SKIP_4) | instid1(VALU_DEP_4)
	v_fma_f32 v28, 0xbf3f9e67, v13, -v12
	v_fmac_f32_e32 v55, 0xbeb58ec6, v13
	v_fmac_f32_e32 v31, 0x3f62ad3f, v13
	;; [unrolled: 1-line block ×3, first 2 shown]
	v_fma_f32 v13, 0xbeb58ec6, v17, -v21
	v_dual_add_f32 v28, v39, v28 :: v_dual_add_f32 v53, v53, v55
	v_add_f32_e32 v55, v56, v57
	s_delay_alu instid0(VALU_DEP_3) | instskip(SKIP_3) | instid1(VALU_DEP_3)
	v_dual_add_f32 v9, v9, v12 :: v_dual_add_f32 v12, v24, v13
	v_fma_f32 v13, 0xbf3f9e67, v17, -v38
	v_mul_f32_e32 v24, 0x3eedf032, v16
	v_fmac_f32_e32 v38, 0xbf3f9e67, v17
	v_add_f32_e32 v13, v30, v13
	s_delay_alu instid0(VALU_DEP_3) | instskip(SKIP_1) | instid1(VALU_DEP_4)
	v_fma_f32 v30, 0x3f62ad3f, v17, -v24
	v_fmac_f32_e32 v24, 0x3f62ad3f, v17
	v_dual_fmac_f32 v21, 0xbeb58ec6, v17 :: v_dual_add_f32 v38, v52, v38
	s_delay_alu instid0(VALU_DEP_3) | instskip(NEXT) | instid1(VALU_DEP_3)
	v_add_f32_e32 v30, v37, v30
	v_add_f32_e32 v24, v53, v24
	s_delay_alu instid0(VALU_DEP_3) | instskip(SKIP_3) | instid1(VALU_DEP_3)
	v_add_f32_e32 v21, v29, v21
	v_mul_f32_e32 v29, 0xbf7e222b, v16
	v_add_f32_e32 v31, v54, v31
	v_mul_f32_e32 v37, 0x3e750f2a, v16
	v_fma_f32 v39, 0x3df6dbef, v17, -v29
	v_fmac_f32_e32 v29, 0x3df6dbef, v17
	s_delay_alu instid0(VALU_DEP_3) | instskip(SKIP_1) | instid1(VALU_DEP_4)
	v_fma_f32 v16, 0xbf788fa5, v17, -v37
	v_fmac_f32_e32 v37, 0xbf788fa5, v17
	v_add_f32_e32 v39, v55, v39
	s_delay_alu instid0(VALU_DEP_4) | instskip(SKIP_4) | instid1(VALU_DEP_3)
	v_add_f32_e32 v29, v31, v29
	v_fma_f32 v31, 0x3f116cb1, v17, -v14
	v_fmac_f32_e32 v14, 0x3f116cb1, v17
	v_add_f32_e32 v16, v20, v16
	v_add_f32_e32 v20, v36, v37
	v_dual_add_f32 v28, v28, v31 :: v_dual_add_f32 v9, v9, v14
	v_mul_f32_e32 v14, 0xbf52af12, v10
	v_mul_f32_e32 v15, 0xbf29c268, v10
	s_delay_alu instid0(VALU_DEP_2) | instskip(SKIP_1) | instid1(VALU_DEP_2)
	v_fma_f32 v36, 0x3f116cb1, v11, -v14
	v_fmac_f32_e32 v14, 0x3f116cb1, v11
	v_add_f32_e32 v30, v30, v36
	s_delay_alu instid0(VALU_DEP_2) | instskip(SKIP_3) | instid1(VALU_DEP_3)
	v_add_f32_e32 v14, v24, v14
	v_mul_f32_e32 v24, 0x3eedf032, v10
	v_fma_f32 v17, 0xbf3f9e67, v11, -v15
	v_fmac_f32_e32 v15, 0xbf3f9e67, v11
	v_fma_f32 v2, 0x3f62ad3f, v11, -v24
	s_delay_alu instid0(VALU_DEP_3) | instskip(NEXT) | instid1(VALU_DEP_3)
	v_dual_add_f32 v12, v12, v17 :: v_dual_mul_f32 v31, 0x3f7e222b, v10
	v_add_f32_e32 v15, v21, v15
	v_mul_f32_e32 v21, 0x3e750f2a, v10
	v_mul_f32_e32 v10, 0xbf6f5d39, v10
	v_add_f32_e32 v2, v16, v2
	v_fma_f32 v17, 0x3df6dbef, v11, -v31
	v_fmac_f32_e32 v31, 0x3df6dbef, v11
	v_fmac_f32_e32 v24, 0x3f62ad3f, v11
	v_mul_f32_e32 v3, 0xbe750f2a, v0
	s_delay_alu instid0(VALU_DEP_4) | instskip(NEXT) | instid1(VALU_DEP_4)
	v_add_f32_e32 v13, v13, v17
	v_add_f32_e32 v17, v38, v31
	v_fma_f32 v31, 0xbf788fa5, v11, -v21
	v_fmac_f32_e32 v21, 0xbf788fa5, v11
	s_delay_alu instid0(VALU_DEP_2) | instskip(NEXT) | instid1(VALU_DEP_2)
	v_add_f32_e32 v31, v39, v31
	v_add_f32_e32 v21, v29, v21
	v_fma_f32 v29, 0xbeb58ec6, v11, -v10
	v_dual_fmac_f32 v10, 0xbeb58ec6, v11 :: v_dual_add_f32 v11, v20, v24
	v_fma_f32 v20, 0xbf788fa5, v1, -v3
	v_mul_f32_e32 v24, 0x3eedf032, v0
	s_delay_alu instid0(VALU_DEP_3) | instskip(SKIP_1) | instid1(VALU_DEP_4)
	v_dual_add_f32 v16, v28, v29 :: v_dual_add_f32 v9, v9, v10
	v_mul_f32_e32 v10, 0xbf29c268, v0
	v_add_f32_e32 v12, v12, v20
	s_delay_alu instid0(VALU_DEP_4) | instskip(NEXT) | instid1(VALU_DEP_3)
	v_fma_f32 v20, 0x3f62ad3f, v1, -v24
	v_fma_f32 v28, 0xbf3f9e67, v1, -v10
	s_delay_alu instid0(VALU_DEP_2) | instskip(NEXT) | instid1(VALU_DEP_2)
	v_add_f32_e32 v13, v13, v20
	v_add_f32_e32 v20, v30, v28
	v_mul_f32_e32 v28, 0xbf6f5d39, v0
	v_fmac_f32_e32 v3, 0xbf788fa5, v1
	v_fmac_f32_e32 v24, 0x3f62ad3f, v1
	s_delay_alu instid0(VALU_DEP_2) | instskip(SKIP_2) | instid1(VALU_DEP_3)
	v_dual_fmac_f32 v10, 0xbf3f9e67, v1 :: v_dual_add_f32 v3, v15, v3
	v_mul_f32_e32 v15, 0x3f52af12, v0
	v_mul_f32_e32 v0, 0x3f7e222b, v0
	v_dual_add_f32 v17, v17, v24 :: v_dual_add_f32 v10, v14, v10
	s_delay_alu instid0(VALU_DEP_3) | instskip(NEXT) | instid1(VALU_DEP_1)
	v_fma_f32 v24, 0x3f116cb1, v1, -v15
	v_add_f32_e32 v14, v31, v24
	s_delay_alu instid0(VALU_DEP_4) | instskip(SKIP_2) | instid1(VALU_DEP_2)
	v_fma_f32 v24, 0x3df6dbef, v1, -v0
	v_fmac_f32_e32 v15, 0x3f116cb1, v1
	v_fmac_f32_e32 v0, 0x3df6dbef, v1
	v_dual_add_f32 v16, v16, v24 :: v_dual_add_f32 v15, v21, v15
	v_fma_f32 v21, 0xbeb58ec6, v1, -v28
	v_fmac_f32_e32 v28, 0xbeb58ec6, v1
	v_mad_u32_u24 v1, v45, 52, 0
	v_add_f32_e32 v0, v9, v0
	s_delay_alu instid0(VALU_DEP_3)
	v_dual_add_f32 v2, v2, v21 :: v_dual_add_f32 v9, v11, v28
	ds_store_2addr_b32 v1, v25, v12 offset1:1
	ds_store_2addr_b32 v1, v13, v20 offset0:2 offset1:3
	ds_store_2addr_b32 v1, v14, v2 offset0:4 offset1:5
	;; [unrolled: 1-line block ×5, first 2 shown]
	ds_store_b32 v1, v3 offset:48
.LBB0_19:
	s_wait_alu 0xfffe
	s_or_b32 exec_lo, exec_lo, s1
	v_and_b32_e32 v65, 0xff, v45
	v_and_b32_e32 v17, 0xff, v58
	global_wb scope:SCOPE_SE
	s_wait_dscnt 0x0
	s_barrier_signal -1
	s_barrier_wait -1
	v_mul_lo_u16 v9, 0x4f, v65
	v_mul_lo_u16 v3, 0x4f, v17
	global_inv scope:SCOPE_SE
	v_add_nc_u32_e32 v0, 0xea, v58
	v_lshrrev_b16 v70, 10, v9
	v_lshrrev_b16 v69, 10, v3
	s_delay_alu instid0(VALU_DEP_3) | instskip(NEXT) | instid1(VALU_DEP_3)
	v_and_b32_e32 v3, 0xffff, v0
	v_mul_lo_u16 v11, v70, 13
	s_delay_alu instid0(VALU_DEP_3) | instskip(NEXT) | instid1(VALU_DEP_3)
	v_mul_lo_u16 v10, v69, 13
	v_mul_u32_u24_e32 v13, 0x4ec5, v3
	v_mul_u32_u24_e32 v81, 0xa41b, v3
	s_delay_alu instid0(VALU_DEP_4) | instskip(NEXT) | instid1(VALU_DEP_4)
	v_sub_nc_u16 v11, v45, v11
	v_sub_nc_u16 v10, v58, v10
	s_delay_alu instid0(VALU_DEP_4) | instskip(NEXT) | instid1(VALU_DEP_4)
	v_lshrrev_b32_e32 v72, 18, v13
	v_lshrrev_b32_e32 v81, 16, v81
	s_delay_alu instid0(VALU_DEP_4) | instskip(NEXT) | instid1(VALU_DEP_3)
	v_and_b32_e32 v74, 0xff, v11
	v_mul_lo_u16 v20, v72, 13
	v_mul_u32_u24_e32 v72, 0x9c, v72
	s_delay_alu instid0(VALU_DEP_3) | instskip(SKIP_4) | instid1(VALU_DEP_3)
	v_lshlrev_b32_e32 v21, 4, v74
	global_load_b128 v[28:31], v21, s[8:9]
	v_add_nc_u32_e32 v2, 0x15f, v58
	v_and_b32_e32 v71, 0xff, v10
	v_add_nc_u32_e32 v1, 0x1d4, v58
	v_and_b32_e32 v9, 0xffff, v2
	s_delay_alu instid0(VALU_DEP_3) | instskip(NEXT) | instid1(VALU_DEP_3)
	v_lshlrev_b32_e32 v11, 4, v71
	v_and_b32_e32 v12, 0xffff, v1
	s_delay_alu instid0(VALU_DEP_3) | instskip(SKIP_1) | instid1(VALU_DEP_3)
	v_mul_u32_u24_e32 v14, 0x4ec5, v9
	v_mul_u32_u24_e32 v82, 0xa41b, v9
	;; [unrolled: 1-line block ×3, first 2 shown]
	s_delay_alu instid0(VALU_DEP_3)
	v_lshrrev_b32_e32 v73, 18, v14
	global_load_b128 v[13:16], v11, s[8:9]
	v_lshrrev_b32_e32 v75, 18, v10
	v_sub_nc_u16 v11, v0, v20
	v_lshrrev_b32_e32 v82, 16, v82
	v_mul_lo_u16 v10, v73, 13
	v_mul_u32_u24_e32 v73, 0x9c, v73
	v_mul_lo_u16 v20, v75, 13
	v_and_b32_e32 v76, 0xffff, v11
	v_mul_u32_u24_e32 v75, 0x9c, v75
	v_sub_nc_u16 v10, v2, v10
	s_delay_alu instid0(VALU_DEP_4) | instskip(NEXT) | instid1(VALU_DEP_2)
	v_sub_nc_u16 v11, v1, v20
	v_and_b32_e32 v77, 0xffff, v10
	v_lshlrev_b32_e32 v10, 4, v76
	global_load_b128 v[36:39], v10, s[8:9]
	v_and_b32_e32 v78, 0xffff, v11
	v_lshlrev_b32_e32 v11, 4, v77
	v_and_b32_e32 v70, 0xffff, v70
	s_delay_alu instid0(VALU_DEP_3)
	v_lshlrev_b32_e32 v10, 4, v78
	s_clause 0x1
	global_load_b128 v[52:55], v11, s[8:9]
	global_load_b128 v[59:62], v10, s[8:9]
	ds_load_2addr_b32 v[10:11], v44 offset1:117
	ds_load_2addr_b32 v[20:21], v46 offset0:84 offset1:201
	ds_load_2addr_b32 v[24:25], v48 offset0:18 offset1:135
	;; [unrolled: 1-line block ×4, first 2 shown]
	v_and_b32_e32 v69, 0xffff, v69
	s_wait_loadcnt_dscnt 0x402
	v_mul_f32_e32 v89, v25, v31
	v_mul_u32_u24_e32 v83, 0xa41b, v12
	v_mul_f32_e32 v31, v43, v31
	v_mul_u32_u24_e32 v12, 0x8c09, v12
	s_delay_alu instid0(VALU_DEP_4) | instskip(NEXT) | instid1(VALU_DEP_4)
	v_fmac_f32_e32 v89, v43, v30
	v_lshrrev_b32_e32 v83, 16, v83
	v_lshlrev_b32_e32 v74, 2, v74
	s_delay_alu instid0(VALU_DEP_2) | instskip(NEXT) | instid1(VALU_DEP_1)
	v_sub_nc_u16 v88, v1, v83
	v_lshrrev_b16 v88, 1, v88
	s_delay_alu instid0(VALU_DEP_1) | instskip(SKIP_4) | instid1(VALU_DEP_3)
	v_add_nc_u16 v83, v88, v83
	s_wait_dscnt 0x1
	v_mul_f32_e32 v88, v56, v29
	v_mul_f32_e32 v29, v40, v29
	v_sub_nc_u16 v87, v2, v82
	v_fmac_f32_e32 v88, v40, v28
	s_delay_alu instid0(VALU_DEP_2) | instskip(NEXT) | instid1(VALU_DEP_1)
	v_lshrrev_b16 v87, 1, v87
	v_add_nc_u16 v82, v87, v82
	s_wait_loadcnt 0x3
	v_mul_f32_e32 v87, v24, v16
	v_sub_nc_u16 v86, v0, v81
	v_mul_f32_e32 v16, v42, v16
	v_mul_lo_u16 v17, 0xa5, v17
	s_delay_alu instid0(VALU_DEP_4) | instskip(NEXT) | instid1(VALU_DEP_4)
	v_fmac_f32_e32 v87, v42, v15
	v_lshrrev_b16 v86, 1, v86
	s_delay_alu instid0(VALU_DEP_3) | instskip(NEXT) | instid1(VALU_DEP_2)
	v_lshrrev_b16 v17, 8, v17
	v_add_nc_u16 v81, v86, v81
	v_mul_f32_e32 v86, v21, v14
	v_mul_lo_u16 v79, 0xa5, v65
	ds_load_2addr_b32 v[65:66], v50 offset0:124 offset1:241
	ds_load_2addr_b32 v[67:68], v51 offset0:40 offset1:157
	ds_load_b32 v80, v44 offset:6552
	v_sub_nc_u16 v84, v58, v17
	v_mul_f32_e32 v14, v19, v14
	v_fmac_f32_e32 v86, v19, v13
	v_lshrrev_b16 v79, 8, v79
	s_wait_loadcnt 0x0
	v_mul_f32_e32 v42, v8, v62
	v_lshrrev_b16 v84, 1, v84
	v_fma_f32 v13, v21, v13, -v14
	v_fma_f32 v14, v24, v15, -v16
	v_sub_nc_u16 v85, v45, v79
	v_fma_f32 v16, v25, v30, -v31
	v_dual_mul_f32 v31, v35, v55 :: v_dual_and_b32 v84, 0x7f, v84
	v_mul_f32_e32 v25, v34, v39
	s_delay_alu instid0(VALU_DEP_4)
	v_lshrrev_b16 v85, 1, v85
	v_mul_u32_u24_e32 v70, 0x9c, v70
	v_fma_f32 v15, v56, v28, -v29
	s_wait_dscnt 0x2
	v_dual_mul_f32 v29, v32, v53 :: v_dual_mul_f32 v24, v65, v39
	v_and_b32_e32 v85, 0x7f, v85
	v_add_nc_u16 v17, v84, v17
	v_add3_u32 v70, 0, v70, v74
	v_mul_f32_e32 v30, v66, v55
	v_fmac_f32_e32 v24, v34, v38
	v_add_nc_u16 v79, v85, v79
	v_lshlrev_b32_e32 v74, 2, v77
	v_mul_u32_u24_e32 v69, 0x9c, v69
	v_lshrrev_b16 v17, 5, v17
	s_wait_dscnt 0x1
	v_mul_f32_e32 v28, v67, v53
	v_lshrrev_b16 v77, 5, v79
	v_lshlrev_b32_e32 v71, 2, v71
	v_lshrrev_b16 v79, 5, v82
	s_delay_alu instid0(VALU_DEP_4) | instskip(NEXT) | instid1(VALU_DEP_4)
	v_dual_mul_f32 v19, v57, v37 :: v_dual_fmac_f32 v28, v32, v52
	v_dual_add_f32 v34, v86, v87 :: v_dual_and_b32 v77, 7, v77
	s_delay_alu instid0(VALU_DEP_4) | instskip(SKIP_1) | instid1(VALU_DEP_4)
	v_add3_u32 v69, 0, v69, v71
	v_dual_fmac_f32 v30, v35, v54 :: v_dual_lshlrev_b32 v71, 2, v76
	v_dual_fmac_f32 v19, v41, v36 :: v_dual_and_b32 v82, 7, v17
	v_dual_mul_f32 v21, v41, v37 :: v_dual_lshlrev_b32 v76, 2, v78
	v_mul_f32_e32 v39, v33, v60
	v_lshrrev_b16 v78, 5, v81
	v_lshrrev_b16 v81, 5, v83
	v_mul_lo_u16 v83, v77, 39
	v_mul_lo_u16 v17, v82, 39
	v_add3_u32 v71, 0, v72, v71
	v_mul_f32_e32 v37, v68, v60
	v_add3_u32 v72, 0, v73, v74
	v_sub_nc_u16 v74, v45, v83
	v_mul_lo_u16 v73, v78, 39
	v_sub_nc_u16 v17, v58, v17
	s_wait_dscnt 0x0
	v_mul_f32_e32 v40, v80, v62
	v_fma_f32 v21, v57, v36, -v21
	v_dual_fmac_f32 v37, v33, v59 :: v_dual_and_b32 v74, 0xff, v74
	v_fma_f32 v25, v65, v38, -v25
	v_dual_sub_f32 v35, v13, v14 :: v_dual_add_f32 v36, v10, v13
	v_sub_nc_u16 v73, v0, v73
	v_dual_sub_f32 v38, v86, v87 :: v_dual_and_b32 v83, 0xff, v17
	v_dual_fmac_f32 v40, v8, v61 :: v_dual_lshlrev_b32 v85, 4, v74
	v_fma_f32 v32, v68, v59, -v39
	v_add_f32_e32 v13, v13, v14
	v_dual_add_f32 v39, v23, v88 :: v_dual_add_f32 v14, v36, v14
	v_dual_add_f32 v43, v11, v15 :: v_dual_sub_f32 v36, v21, v25
	v_add_f32_e32 v41, v88, v89
	v_and_b32_e32 v73, 0xffff, v73
	v_dual_add_f32 v33, v22, v86 :: v_dual_lshlrev_b32 v84, 4, v83
	v_fma_f32 v29, v67, v52, -v29
	v_fma_f32 v31, v66, v54, -v31
	;; [unrolled: 1-line block ×3, first 2 shown]
	v_sub_f32_e32 v42, v15, v16
	s_delay_alu instid0(VALU_DEP_4)
	v_dual_add_f32 v15, v15, v16 :: v_dual_add_f32 v54, v64, v29
	v_sub_f32_e32 v52, v88, v89
	v_fma_f32 v22, -0.5, v34, v22
	v_fma_f32 v10, -0.5, v13, v10
	v_add_f32_e32 v13, v39, v89
	v_dual_add_f32 v16, v43, v16 :: v_dual_fmac_f32 v23, -0.5, v41
	v_dual_add_f32 v56, v37, v40 :: v_dual_add_f32 v39, v63, v21
	v_add_f32_e32 v21, v21, v25
	v_add_f32_e32 v41, v27, v28
	v_sub_f32_e32 v53, v29, v31
	v_add_f32_e32 v55, v18, v37
	v_fmamk_f32 v61, v38, 0x3f5db3d7, v10
	v_fmac_f32_e32 v10, 0xbf5db3d7, v38
	v_fma_f32 v21, -0.5, v21, v63
	v_sub_f32_e32 v57, v32, v8
	v_fmac_f32_e32 v18, -0.5, v56
	v_add_f32_e32 v59, v20, v32
	v_add_f32_e32 v29, v29, v31
	v_dual_add_f32 v33, v33, v87 :: v_dual_add_f32 v34, v19, v24
	v_dual_fmac_f32 v11, -0.5, v15 :: v_dual_add_f32 v32, v32, v8
	v_dual_add_f32 v15, v26, v19 :: v_dual_fmamk_f32 v60, v35, 0xbf5db3d7, v22
	s_delay_alu instid0(VALU_DEP_2)
	v_dual_sub_f32 v19, v19, v24 :: v_dual_fmamk_f32 v62, v52, 0x3f5db3d7, v11
	v_dual_add_f32 v8, v59, v8 :: v_dual_add_f32 v43, v28, v30
	v_fmac_f32_e32 v64, -0.5, v29
	v_sub_f32_e32 v28, v28, v30
	v_fmac_f32_e32 v22, 0x3f5db3d7, v35
	v_dual_fmamk_f32 v35, v42, 0xbf5db3d7, v23 :: v_dual_fmac_f32 v20, -0.5, v32
	v_add_f32_e32 v25, v39, v25
	v_fmac_f32_e32 v27, -0.5, v43
	v_dual_fmamk_f32 v32, v19, 0x3f5db3d7, v21 :: v_dual_sub_f32 v37, v37, v40
	v_fmamk_f32 v43, v28, 0x3f5db3d7, v64
	v_fmac_f32_e32 v64, 0xbf5db3d7, v28
	v_fmamk_f32 v28, v57, 0xbf5db3d7, v18
	v_dual_fmac_f32 v18, 0x3f5db3d7, v57 :: v_dual_add_f32 v15, v15, v24
	v_fmamk_f32 v56, v37, 0x3f5db3d7, v20
	v_fma_f32 v24, -0.5, v34, v26
	v_fmac_f32_e32 v23, 0x3f5db3d7, v42
	v_dual_fmac_f32 v11, 0xbf5db3d7, v52 :: v_dual_fmac_f32 v20, 0xbf5db3d7, v37
	v_add_f32_e32 v26, v41, v30
	s_delay_alu instid0(VALU_DEP_4)
	v_dual_add_f32 v30, v54, v31 :: v_dual_fmamk_f32 v31, v36, 0xbf5db3d7, v24
	global_wb scope:SCOPE_SE
	s_barrier_signal -1
	s_barrier_wait -1
	global_inv scope:SCOPE_SE
	v_add3_u32 v75, 0, v75, v76
	v_add_f32_e32 v29, v55, v40
	v_fmac_f32_e32 v24, 0x3f5db3d7, v36
	v_fmac_f32_e32 v21, 0xbf5db3d7, v19
	v_fmamk_f32 v19, v53, 0xbf5db3d7, v27
	v_dual_fmac_f32 v27, 0x3f5db3d7, v53 :: v_dual_lshlrev_b32 v68, 2, v74
	ds_store_2addr_b32 v69, v33, v60 offset1:13
	ds_store_b32 v69, v22 offset:104
	ds_store_2addr_b32 v70, v13, v35 offset1:13
	ds_store_b32 v70, v23 offset:104
	;; [unrolled: 2-line block ×5, first 2 shown]
	global_wb scope:SCOPE_SE
	s_wait_dscnt 0x0
	s_barrier_signal -1
	s_barrier_wait -1
	global_inv scope:SCOPE_SE
	ds_load_2addr_b32 v[33:34], v44 offset1:117
	ds_load_2addr_b32 v[35:36], v46 offset0:84 offset1:201
	ds_load_2addr_b32 v[37:38], v48 offset0:18 offset1:135
	;; [unrolled: 1-line block ×6, first 2 shown]
	ds_load_b32 v80, v44 offset:6552
	global_wb scope:SCOPE_SE
	s_wait_dscnt 0x0
	s_barrier_signal -1
	s_barrier_wait -1
	global_inv scope:SCOPE_SE
	ds_store_2addr_b32 v69, v14, v61 offset1:13
	ds_store_b32 v69, v10 offset:104
	ds_store_2addr_b32 v70, v16, v62 offset1:13
	ds_store_b32 v70, v11 offset:104
	;; [unrolled: 2-line block ×5, first 2 shown]
	global_wb scope:SCOPE_SE
	s_wait_dscnt 0x0
	s_barrier_signal -1
	s_barrier_wait -1
	global_inv scope:SCOPE_SE
	global_load_b128 v[13:16], v84, s[8:9] offset:208
	v_mul_lo_u16 v17, v81, 39
	v_lshlrev_b32_e32 v10, 4, v73
	v_mul_lo_u16 v76, v79, 39
	v_mul_u32_u24_e32 v3, 0x8c09, v3
	s_delay_alu instid0(VALU_DEP_4)
	v_sub_nc_u16 v8, v1, v17
	s_clause 0x1
	global_load_b128 v[21:24], v10, s[8:9] offset:208
	global_load_b128 v[17:20], v85, s[8:9] offset:208
	v_sub_nc_u16 v76, v2, v76
	v_lshrrev_b32_e32 v3, 22, v3
	v_and_b32_e32 v56, 0xffff, v8
	v_and_b32_e32 v59, 0xffff, v77
	v_lshlrev_b32_e32 v67, 2, v83
	v_and_b32_e32 v43, 0xffff, v76
	v_mul_lo_u16 v3, 0x75, v3
	v_lshlrev_b32_e32 v10, 4, v56
	v_lshlrev_b32_e32 v66, 2, v56
	v_mul_u32_u24_e32 v64, 0x1d4, v59
	v_lshlrev_b32_e32 v8, 4, v43
	s_clause 0x1
	global_load_b128 v[25:28], v8, s[8:9] offset:208
	global_load_b128 v[29:32], v10, s[8:9] offset:208
	v_mul_u32_u24_e32 v8, 0x8c09, v9
	v_lshlrev_b32_e32 v10, 1, v58
	v_sub_nc_u16 v3, v0, v3
	v_mov_b32_e32 v11, 0
	ds_load_2addr_b32 v[59:60], v49 offset0:62 offset1:179
	v_lshrrev_b32_e32 v57, 22, v8
	v_and_b32_e32 v70, 0xffff, v3
	v_lshlrev_b64_e32 v[8:9], 3, v[10:11]
	v_lshrrev_b32_e32 v10, 22, v12
	s_delay_alu instid0(VALU_DEP_4) | instskip(SKIP_1) | instid1(VALU_DEP_4)
	v_mul_lo_u16 v12, 0x75, v57
	v_and_b32_e32 v57, 0xffff, v82
	v_add_co_u32 v8, s0, s8, v8
	s_delay_alu instid0(VALU_DEP_2)
	v_mul_u32_u24_e32 v63, 0x1d4, v57
	ds_load_2addr_b32 v[56:57], v48 offset0:18 offset1:135
	v_sub_nc_u16 v69, v2, v12
	v_and_b32_e32 v2, 0xffff, v78
	v_and_b32_e32 v3, 0xffff, v79
	v_lshlrev_b32_e32 v65, 2, v73
	v_add3_u32 v73, 0, v64, v68
	s_wait_alu 0xf1ff
	v_add_co_ci_u32_e64 v9, s0, s9, v9, s0
	v_mul_u32_u24_e32 v61, 0x1d4, v2
	v_mul_lo_u16 v10, 0x75, v10
	s_delay_alu instid0(VALU_DEP_1)
	v_sub_nc_u16 v1, v1, v10
	s_wait_loadcnt_dscnt 0x400
	v_mul_f32_e32 v76, v56, v16
	v_mul_u32_u24_e32 v62, 0x1d4, v3
	ds_load_2addr_b32 v[2:3], v46 offset0:84 offset1:201
	v_and_b32_e32 v12, 0xffff, v81
	v_mul_f32_e32 v16, v37, v16
	s_wait_loadcnt 0x3
	v_dual_fmac_f32 v76, v37, v15 :: v_dual_mul_f32 v79, v60, v22
	s_wait_loadcnt 0x2
	v_mul_f32_e32 v78, v57, v20
	v_add3_u32 v71, 0, v61, v65
	v_mul_f32_e32 v22, v40, v22
	v_mul_f32_e32 v77, v59, v18
	;; [unrolled: 1-line block ×3, first 2 shown]
	v_dual_mul_f32 v20, v38, v20 :: v_dual_fmac_f32 v79, v40, v21
	s_wait_dscnt 0x0
	v_mul_f32_e32 v75, v3, v14
	v_dual_mul_f32 v14, v36, v14 :: v_dual_lshlrev_b32 v43, 2, v43
	v_mul_u32_u24_e32 v12, 0x1d4, v12
	s_delay_alu instid0(VALU_DEP_3) | instskip(NEXT) | instid1(VALU_DEP_3)
	v_fmac_f32_e32 v75, v36, v13
	v_fma_f32 v3, v3, v13, -v14
	s_delay_alu instid0(VALU_DEP_4)
	v_add3_u32 v43, 0, v62, v43
	ds_load_2addr_b32 v[61:62], v50 offset0:124 offset1:241
	v_add3_u32 v12, 0, v12, v66
	v_fma_f32 v13, v56, v15, -v16
	v_fma_f32 v15, v59, v17, -v18
	v_fmac_f32_e32 v78, v38, v19
	v_fma_f32 v16, v57, v19, -v20
	s_wait_dscnt 0x0
	v_mul_f32_e32 v81, v61, v24
	v_mul_f32_e32 v24, v52, v24
	v_add3_u32 v72, 0, v63, v67
	ds_load_2addr_b32 v[63:64], v51 offset0:40 offset1:157
	ds_load_2addr_b32 v[65:66], v44 offset1:117
	ds_load_2addr_b32 v[67:68], v47 offset0:106 offset1:223
	ds_load_b32 v74, v44 offset:6552
	s_wait_loadcnt 0x1
	v_mul_f32_e32 v83, v62, v28
	v_mul_f32_e32 v28, v53, v28
	s_wait_loadcnt 0x0
	v_dual_mul_f32 v14, v80, v32 :: v_dual_fmac_f32 v77, v39, v17
	v_fma_f32 v17, v60, v21, -v22
	v_fma_f32 v18, v61, v23, -v24
	;; [unrolled: 1-line block ×3, first 2 shown]
	v_add_f32_e32 v22, v33, v75
	v_sub_f32_e32 v24, v3, v13
	global_wb scope:SCOPE_SE
	s_wait_dscnt 0x0
	v_sub_f32_e32 v37, v17, v18
	s_barrier_signal -1
	s_barrier_wait -1
	global_inv scope:SCOPE_SE
	v_lshl_add_u32 v62, v70, 2, 0
	v_mul_f32_e32 v82, v63, v26
	v_mul_f32_e32 v26, v54, v26
	v_dual_mul_f32 v84, v64, v30 :: v_dual_mul_f32 v85, v74, v32
	v_dual_mul_f32 v30, v55, v30 :: v_dual_fmac_f32 v81, v52, v23
	s_delay_alu instid0(VALU_DEP_4) | instskip(NEXT) | instid1(VALU_DEP_4)
	v_fmac_f32_e32 v82, v54, v25
	v_fma_f32 v19, v63, v25, -v26
	s_delay_alu instid0(VALU_DEP_4)
	v_dual_fmac_f32 v83, v53, v27 :: v_dual_fmac_f32 v84, v55, v29
	v_fmac_f32_e32 v85, v80, v31
	v_fma_f32 v21, v64, v29, -v30
	v_fma_f32 v14, v74, v31, -v14
	v_add_f32_e32 v23, v75, v76
	v_dual_add_f32 v25, v65, v3 :: v_dual_sub_f32 v26, v75, v76
	v_add_f32_e32 v3, v3, v13
	v_dual_add_f32 v27, v34, v77 :: v_dual_add_f32 v28, v77, v78
	v_dual_sub_f32 v29, v15, v16 :: v_dual_add_f32 v30, v66, v15
	v_dual_add_f32 v15, v15, v16 :: v_dual_add_f32 v32, v41, v79
	v_dual_sub_f32 v31, v77, v78 :: v_dual_add_f32 v36, v79, v81
	v_dual_add_f32 v38, v67, v17 :: v_dual_add_f32 v17, v17, v18
	v_dual_add_f32 v52, v82, v83 :: v_dual_sub_f32 v53, v19, v20
	v_dual_add_f32 v54, v68, v19 :: v_dual_add_f32 v19, v19, v20
	v_add_f32_e32 v60, v2, v21
	v_dual_add_f32 v57, v84, v85 :: v_dual_add_f32 v22, v22, v76
	v_dual_sub_f32 v59, v21, v14 :: v_dual_fmac_f32 v34, -0.5, v28
	v_dual_add_f32 v21, v21, v14 :: v_dual_add_f32 v16, v30, v16
	v_fma_f32 v23, -0.5, v23, v33
	v_fma_f32 v3, -0.5, v3, v65
	v_dual_sub_f32 v61, v84, v85 :: v_dual_fmac_f32 v66, -0.5, v15
	v_dual_sub_f32 v39, v79, v81 :: v_dual_add_f32 v40, v42, v82
	v_dual_sub_f32 v55, v82, v83 :: v_dual_add_f32 v56, v35, v84
	v_dual_add_f32 v13, v25, v13 :: v_dual_add_f32 v18, v38, v18
	s_delay_alu instid0(VALU_DEP_3)
	v_dual_add_f32 v25, v27, v78 :: v_dual_add_f32 v28, v40, v83
	v_dual_add_f32 v15, v32, v81 :: v_dual_fmac_f32 v42, -0.5, v52
	v_fma_f32 v27, -0.5, v36, v41
	v_fma_f32 v17, -0.5, v17, v67
	v_dual_fmac_f32 v68, -0.5, v19 :: v_dual_fmac_f32 v35, -0.5, v57
	v_add_f32_e32 v14, v60, v14
	v_dual_fmac_f32 v2, -0.5, v21 :: v_dual_fmamk_f32 v21, v24, 0xbf5db3d7, v23
	v_fmac_f32_e32 v23, 0x3f5db3d7, v24
	v_fmamk_f32 v24, v26, 0x3f5db3d7, v3
	v_dual_fmac_f32 v3, 0xbf5db3d7, v26 :: v_dual_fmamk_f32 v26, v29, 0xbf5db3d7, v34
	v_fmamk_f32 v52, v31, 0x3f5db3d7, v66
	v_fmac_f32_e32 v34, 0x3f5db3d7, v29
	v_dual_fmac_f32 v66, 0xbf5db3d7, v31 :: v_dual_fmamk_f32 v29, v37, 0xbf5db3d7, v27
	v_dual_add_f32 v20, v54, v20 :: v_dual_add_f32 v19, v56, v85
	v_fmamk_f32 v54, v39, 0x3f5db3d7, v17
	v_dual_fmac_f32 v17, 0xbf5db3d7, v39 :: v_dual_fmamk_f32 v30, v53, 0xbf5db3d7, v42
	v_fmac_f32_e32 v42, 0x3f5db3d7, v53
	v_fmamk_f32 v53, v55, 0x3f5db3d7, v68
	v_dual_fmac_f32 v68, 0xbf5db3d7, v55 :: v_dual_fmamk_f32 v31, v59, 0xbf5db3d7, v35
	v_fmac_f32_e32 v35, 0x3f5db3d7, v59
	v_fmac_f32_e32 v27, 0x3f5db3d7, v37
	v_fmamk_f32 v55, v61, 0x3f5db3d7, v2
	v_fmac_f32_e32 v2, 0xbf5db3d7, v61
	ds_store_2addr_b32 v72, v22, v21 offset1:39
	ds_store_b32 v72, v23 offset:312
	ds_store_2addr_b32 v73, v25, v26 offset1:39
	ds_store_b32 v73, v34 offset:312
	;; [unrolled: 2-line block ×5, first 2 shown]
	global_wb scope:SCOPE_SE
	s_wait_dscnt 0x0
	s_barrier_signal -1
	s_barrier_wait -1
	global_inv scope:SCOPE_SE
	ds_load_2addr_b32 v[28:29], v44 offset1:117
	ds_load_2addr_b32 v[30:31], v46 offset0:84 offset1:201
	ds_load_2addr_b32 v[32:33], v48 offset0:18 offset1:135
	;; [unrolled: 1-line block ×6, first 2 shown]
	ds_load_b32 v61, v44 offset:6552
	global_wb scope:SCOPE_SE
	s_wait_dscnt 0x0
	s_barrier_signal -1
	s_barrier_wait -1
	global_inv scope:SCOPE_SE
	ds_store_2addr_b32 v72, v13, v24 offset1:39
	ds_store_b32 v72, v3 offset:312
	ds_store_2addr_b32 v73, v16, v52 offset1:39
	ds_store_b32 v73, v66 offset:312
	ds_store_2addr_b32 v71, v18, v54 offset1:39
	ds_store_b32 v71, v17 offset:312
	ds_store_2addr_b32 v43, v20, v53 offset1:39
	ds_store_b32 v43, v68 offset:312
	ds_store_2addr_b32 v12, v14, v55 offset1:39
	ds_store_b32 v12, v2 offset:312
	global_wb scope:SCOPE_SE
	s_wait_dscnt 0x0
	s_barrier_signal -1
	s_barrier_wait -1
	global_inv scope:SCOPE_SE
	global_load_b128 v[12:15], v[8:9], off offset:832
	v_lshlrev_b32_e32 v2, 4, v70
	global_load_b128 v[16:19], v2, s[8:9] offset:832
	v_and_b32_e32 v3, 0xffff, v69
	v_and_b32_e32 v10, 0xffff, v1
	v_add_nc_u32_e32 v63, 0xa00, v62
	s_delay_alu instid0(VALU_DEP_2)
	v_lshlrev_b32_e32 v2, 4, v10
	s_wait_loadcnt 0x1
	v_mul_f32_e32 v70, v32, v15
	v_lshlrev_b32_e32 v1, 4, v3
	s_clause 0x1
	global_load_b128 v[20:23], v1, s[8:9] offset:832
	global_load_b128 v[24:27], v2, s[8:9] offset:832
	ds_load_2addr_b32 v[8:9], v48 offset0:18 offset1:135
	ds_load_2addr_b32 v[42:43], v49 offset0:62 offset1:179
	;; [unrolled: 1-line block ×5, first 2 shown]
	ds_load_2addr_b32 v[56:57], v44 offset1:117
	ds_load_2addr_b32 v[59:60], v47 offset0:106 offset1:223
	ds_load_b32 v66, v44 offset:6552
	v_lshl_add_u32 v3, v3, 2, 0
	v_mul_f32_e32 v68, v31, v13
	global_wb scope:SCOPE_SE
	s_wait_loadcnt_dscnt 0x0
	s_barrier_signal -1
	s_barrier_wait -1
	v_add_nc_u32_e32 v64, 0x1000, v3
	global_inv scope:SCOPE_SE
	v_mul_f32_e32 v69, v8, v15
	v_mul_f32_e32 v71, v42, v13
	v_dual_mul_f32 v67, v2, v13 :: v_dual_mul_f32 v72, v9, v15
	v_mul_f32_e32 v73, v43, v17
	v_mul_f32_e32 v15, v33, v15
	v_lshl_add_u32 v10, v10, 2, 0
	v_mul_f32_e32 v13, v34, v13
	v_dual_mul_f32 v17, v35, v17 :: v_dual_mul_f32 v74, v52, v19
	v_fma_f32 v2, v2, v12, -v68
	s_delay_alu instid0(VALU_DEP_4)
	v_add_nc_u32_e32 v65, 0x1400, v10
	v_fma_f32 v8, v8, v14, -v70
	v_fma_f32 v9, v9, v14, -v15
	v_fmac_f32_e32 v71, v34, v12
	v_dual_mul_f32 v19, v38, v19 :: v_dual_fmac_f32 v72, v33, v14
	v_fmac_f32_e32 v67, v31, v12
	v_fmac_f32_e32 v69, v32, v14
	v_fma_f32 v12, v42, v12, -v13
	v_fmac_f32_e32 v73, v35, v16
	v_fma_f32 v14, v52, v18, -v19
	v_fmac_f32_e32 v74, v38, v18
	v_dual_mul_f32 v76, v53, v23 :: v_dual_mul_f32 v75, v54, v21
	v_dual_mul_f32 v21, v40, v21 :: v_dual_mul_f32 v78, v66, v27
	v_mul_f32_e32 v23, v39, v23
	v_mul_f32_e32 v77, v55, v25
	;; [unrolled: 1-line block ×3, first 2 shown]
	v_fma_f32 v13, v43, v16, -v17
	v_fma_f32 v15, v54, v20, -v21
	v_fmac_f32_e32 v76, v39, v22
	v_fma_f32 v16, v53, v22, -v23
	v_add_f32_e32 v22, v56, v2
	v_fma_f32 v17, v55, v24, -v25
	v_fmac_f32_e32 v78, v61, v26
	v_fmac_f32_e32 v77, v41, v24
	v_dual_sub_f32 v21, v2, v8 :: v_dual_add_f32 v42, v60, v15
	v_add_f32_e32 v2, v2, v8
	v_add_f32_e32 v24, v29, v71
	v_mul_f32_e32 v27, v61, v27
	v_dual_fmac_f32 v75, v40, v20 :: v_dual_sub_f32 v34, v13, v14
	v_add_f32_e32 v20, v67, v69
	v_fma_f32 v2, -0.5, v2, v56
	s_delay_alu instid0(VALU_DEP_4) | instskip(SKIP_3) | instid1(VALU_DEP_4)
	v_fma_f32 v18, v66, v26, -v27
	v_sub_f32_e32 v23, v67, v69
	v_sub_f32_e32 v26, v12, v9
	v_fma_f32 v20, -0.5, v20, v28
	v_dual_sub_f32 v41, v15, v16 :: v_dual_sub_f32 v54, v17, v18
	v_add_f32_e32 v15, v15, v16
	v_dual_add_f32 v27, v57, v12 :: v_dual_add_f32 v12, v12, v9
	v_dual_add_f32 v32, v36, v73 :: v_dual_add_f32 v25, v71, v72
	;; [unrolled: 1-line block ×4, first 2 shown]
	v_dual_add_f32 v19, v28, v67 :: v_dual_sub_f32 v38, v73, v74
	v_dual_add_f32 v35, v59, v13 :: v_dual_add_f32 v28, v22, v8
	v_fmac_f32_e32 v29, -0.5, v25
	v_fmac_f32_e32 v57, -0.5, v12
	v_fma_f32 v12, -0.5, v33, v36
	v_dual_fmamk_f32 v36, v23, 0x3f5db3d7, v2 :: v_dual_add_f32 v39, v37, v75
	v_dual_fmac_f32 v30, -0.5, v53 :: v_dual_sub_f32 v31, v71, v72
	v_dual_add_f32 v13, v13, v14 :: v_dual_add_f32 v8, v24, v72
	v_sub_f32_e32 v43, v75, v76
	v_fmac_f32_e32 v37, -0.5, v40
	v_add_f32_e32 v33, v42, v16
	v_fmamk_f32 v16, v26, 0xbf5db3d7, v29
	v_fmac_f32_e32 v2, 0xbf5db3d7, v23
	v_fmac_f32_e32 v60, -0.5, v15
	v_fmamk_f32 v15, v21, 0xbf5db3d7, v20
	v_fmac_f32_e32 v20, 0x3f5db3d7, v21
	v_add_f32_e32 v25, v27, v9
	v_add_f32_e32 v27, v35, v14
	v_dual_add_f32 v14, v52, v78 :: v_dual_fmamk_f32 v21, v54, 0xbf5db3d7, v30
	v_dual_fmac_f32 v30, 0x3f5db3d7, v54 :: v_dual_add_f32 v55, v1, v17
	v_add_f32_e32 v17, v17, v18
	v_add_f32_e32 v19, v19, v69
	v_fmac_f32_e32 v29, 0x3f5db3d7, v26
	v_add_f32_e32 v9, v32, v74
	v_fma_f32 v32, -0.5, v13, v59
	v_fmac_f32_e32 v1, -0.5, v17
	v_fmamk_f32 v17, v34, 0xbf5db3d7, v12
	v_dual_fmac_f32 v12, 0x3f5db3d7, v34 :: v_dual_add_f32 v13, v39, v76
	v_fmamk_f32 v26, v31, 0x3f5db3d7, v57
	v_dual_add_f32 v35, v55, v18 :: v_dual_fmamk_f32 v18, v41, 0xbf5db3d7, v37
	v_fmac_f32_e32 v37, 0x3f5db3d7, v41
	ds_store_2addr_b32 v44, v19, v15 offset1:117
	ds_store_2addr_b32 v47, v20, v8 offset0:106 offset1:223
	ds_store_2addr_b32 v46, v16, v29 offset0:84 offset1:201
	;; [unrolled: 1-line block ×5, first 2 shown]
	ds_store_b32 v62, v12 offset:3744
	ds_store_b32 v3, v37 offset:5148
	ds_store_b32 v10, v30 offset:6552
	global_wb scope:SCOPE_SE
	s_wait_dscnt 0x0
	s_barrier_signal -1
	s_barrier_wait -1
	global_inv scope:SCOPE_SE
	ds_load_2addr_b32 v[8:9], v44 offset1:117
	ds_load_2addr_b32 v[18:19], v47 offset0:106 offset1:223
	ds_load_2addr_b32 v[16:17], v49 offset0:62 offset1:179
	ds_load_2addr_b32 v[12:13], v51 offset0:40 offset1:157
	ds_load_2addr_b32 v[14:15], v50 offset0:124 offset1:241
	ds_load_2addr_b32 v[22:23], v46 offset0:84 offset1:201
	ds_load_2addr_b32 v[20:21], v48 offset0:18 offset1:135
	ds_load_b32 v24, v44 offset:6552
	v_sub_f32_e32 v61, v77, v78
	v_fmac_f32_e32 v57, 0xbf5db3d7, v31
	v_fmamk_f32 v31, v38, 0x3f5db3d7, v32
	v_fmamk_f32 v34, v43, 0x3f5db3d7, v60
	v_fmac_f32_e32 v60, 0xbf5db3d7, v43
	v_fmac_f32_e32 v32, 0xbf5db3d7, v38
	v_fmamk_f32 v29, v61, 0x3f5db3d7, v1
	v_fmac_f32_e32 v1, 0xbf5db3d7, v61
	global_wb scope:SCOPE_SE
	s_wait_dscnt 0x0
	s_barrier_signal -1
	s_barrier_wait -1
	global_inv scope:SCOPE_SE
	ds_store_2addr_b32 v44, v28, v36 offset1:117
	ds_store_2addr_b32 v47, v2, v25 offset0:106 offset1:223
	ds_store_2addr_b32 v46, v26, v57 offset0:84 offset1:201
	;; [unrolled: 1-line block ×5, first 2 shown]
	ds_store_b32 v62, v32 offset:3744
	ds_store_b32 v3, v60 offset:5148
	;; [unrolled: 1-line block ×3, first 2 shown]
	global_wb scope:SCOPE_SE
	s_wait_dscnt 0x0
	s_barrier_signal -1
	s_barrier_wait -1
	global_inv scope:SCOPE_SE
	s_and_saveexec_b32 s0, vcc_lo
	s_cbranch_execz .LBB0_21
; %bb.20:
	v_lshlrev_b32_e32 v10, 2, v0
	v_mul_hi_u32 v53, 0x756cac21, v58
	v_add_nc_u32_e32 v57, 0x75, v58
	v_add_nc_u32_e32 v41, 0x600, v44
	;; [unrolled: 1-line block ×3, first 2 shown]
	v_lshlrev_b64_e32 v[0:1], 3, v[10:11]
	v_lshlrev_b32_e32 v10, 2, v45
	v_add_nc_u32_e32 v49, 0x1200, v44
	v_add_nc_u32_e32 v54, 0x200, v44
	;; [unrolled: 1-line block ×4, first 2 shown]
	v_add_co_u32 v0, vcc_lo, s8, v0
	s_wait_alu 0xfffd
	v_add_co_ci_u32_e32 v1, vcc_lo, s9, v1, vcc_lo
	v_mul_hi_u32 v59, 0x756cac21, v57
	v_mul_lo_u32 v51, s3, v6
	v_mul_lo_u32 v52, s2, v7
	s_clause 0x1
	global_load_b128 v[25:28], v[0:1], off offset:2704
	global_load_b128 v[29:32], v[0:1], off offset:2720
	v_lshlrev_b64_e32 v[0:1], 3, v[10:11]
	v_lshlrev_b32_e32 v10, 2, v58
	v_mad_co_u64_u32 v[6:7], null, s2, v6, 0
	v_sub_nc_u32_e32 v61, v57, v59
	v_lshlrev_b64_e32 v[4:5], 3, v[4:5]
	v_add_co_u32 v0, vcc_lo, s8, v0
	s_wait_alu 0xfffd
	v_add_co_ci_u32_e32 v1, vcc_lo, s9, v1, vcc_lo
	v_lshlrev_b64_e32 v[10:11], 3, v[10:11]
	v_add3_u32 v7, v7, v52, v51
	s_clause 0x1
	global_load_b128 v[33:36], v[0:1], off offset:2704
	global_load_b128 v[0:3], v[0:1], off offset:2720
	v_lshrrev_b32_e32 v61, 1, v61
	v_add_nc_u32_e32 v77, 0xea, v58
	v_add_co_u32 v10, vcc_lo, s8, v10
	s_wait_alu 0xfffd
	v_add_co_ci_u32_e32 v11, vcc_lo, s9, v11, vcc_lo
	s_clause 0x1
	global_load_b128 v[37:40], v[10:11], off offset:2704
	global_load_b128 v[45:48], v[10:11], off offset:2720
	ds_load_b32 v76, v44 offset:6552
	ds_load_2addr_b32 v[10:11], v44 offset1:117
	v_sub_nc_u32_e32 v44, v58, v53
	v_lshlrev_b64_e32 v[6:7], 3, v[6:7]
	v_add_nc_u32_e32 v59, v61, v59
	s_delay_alu instid0(VALU_DEP_3) | instskip(NEXT) | instid1(VALU_DEP_3)
	v_lshrrev_b32_e32 v60, 1, v44
	v_add_co_u32 v6, vcc_lo, s6, v6
	s_delay_alu instid0(VALU_DEP_3) | instskip(NEXT) | instid1(VALU_DEP_3)
	v_lshrrev_b32_e32 v61, 8, v59
	v_add_nc_u32_e32 v60, v60, v53
	s_wait_alu 0xfffd
	v_add_co_ci_u32_e32 v7, vcc_lo, s7, v7, vcc_lo
	v_add_co_u32 v80, vcc_lo, v6, v4
	s_delay_alu instid0(VALU_DEP_3) | instskip(SKIP_3) | instid1(VALU_DEP_3)
	v_lshrrev_b32_e32 v60, 8, v60
	v_mul_u32_u24_e32 v6, 0x15f, v61
	s_wait_alu 0xfffd
	v_add_co_ci_u32_e32 v81, vcc_lo, v7, v5, vcc_lo
	v_mul_u32_u24_e32 v60, 0x15f, v60
	s_delay_alu instid0(VALU_DEP_3) | instskip(NEXT) | instid1(VALU_DEP_2)
	v_sub_nc_u32_e32 v62, v57, v6
	v_sub_nc_u32_e32 v65, v58, v60
	s_delay_alu instid0(VALU_DEP_2) | instskip(NEXT) | instid1(VALU_DEP_2)
	v_mad_u32_u24 v82, 0x6db, v61, v62
	v_add_nc_u32_e32 v68, 0x15f, v65
	v_add_nc_u32_e32 v70, 0x2be, v65
	v_mad_co_u64_u32 v[4:5], null, s16, v65, 0
	v_add_nc_u32_e32 v72, 0x41d, v65
	s_delay_alu instid0(VALU_DEP_4) | instskip(NEXT) | instid1(VALU_DEP_4)
	v_mad_co_u64_u32 v[6:7], null, s16, v68, 0
	v_mad_co_u64_u32 v[57:58], null, s16, v70, 0
	v_add_nc_u32_e32 v74, 0x57c, v65
	s_delay_alu instid0(VALU_DEP_4) | instskip(SKIP_3) | instid1(VALU_DEP_4)
	v_mad_co_u64_u32 v[59:60], null, s16, v72, 0
	v_mad_co_u64_u32 v[63:64], null, s16, v82, 0
	;; [unrolled: 1-line block ×3, first 2 shown]
	v_mov_b32_e32 v5, v7
	v_dual_mov_b32 v7, v58 :: v_dual_mov_b32 v58, v60
	ds_load_2addr_b32 v[41:42], v41 offset0:84 offset1:201
	v_add_nc_u32_e32 v83, 0x15f, v82
	v_mad_co_u64_u32 v[68:69], null, s17, v68, v[5:6]
	v_mad_co_u64_u32 v[69:70], null, s17, v70, v[7:8]
	;; [unrolled: 1-line block ×3, first 2 shown]
	v_add_nc_u32_e32 v84, 0x2be, v82
	v_mad_co_u64_u32 v[66:67], null, s16, v83, 0
	s_delay_alu instid0(VALU_DEP_4) | instskip(NEXT) | instid1(VALU_DEP_3)
	v_dual_mov_b32 v7, v64 :: v_dual_mov_b32 v58, v69
	v_mad_co_u64_u32 v[70:71], null, s16, v84, 0
	v_mov_b32_e32 v5, v65
	s_delay_alu instid0(VALU_DEP_3)
	v_mad_co_u64_u32 v[64:65], null, s17, v82, v[7:8]
	v_mov_b32_e32 v65, v67
	v_dual_mov_b32 v7, v68 :: v_dual_add_nc_u32 v86, 0x57c, v82
	v_mov_b32_e32 v67, v71
	v_lshlrev_b64_e32 v[4:5], 3, v[4:5]
	v_lshlrev_b64_e32 v[57:58], 3, v[57:58]
	s_delay_alu instid0(VALU_DEP_4) | instskip(SKIP_1) | instid1(VALU_DEP_4)
	v_lshlrev_b64_e32 v[6:7], 3, v[6:7]
	v_lshlrev_b64_e32 v[63:64], 3, v[63:64]
	v_add_co_u32 v4, vcc_lo, v80, v4
	s_wait_alu 0xfffd
	v_add_co_ci_u32_e32 v5, vcc_lo, v81, v5, vcc_lo
	s_delay_alu instid0(VALU_DEP_4)
	v_add_co_u32 v6, vcc_lo, v80, v6
	s_wait_alu 0xfffd
	v_add_co_ci_u32_e32 v7, vcc_lo, v81, v7, vcc_lo
	v_add_co_u32 v57, vcc_lo, v80, v57
	s_wait_alu 0xfffd
	v_add_co_ci_u32_e32 v58, vcc_lo, v81, v58, vcc_lo
	s_wait_loadcnt 0x5
	v_mul_f32_e32 v69, v12, v28
	v_mad_co_u64_u32 v[61:62], null, s16, v74, 0
	s_delay_alu instid0(VALU_DEP_1)
	v_mov_b32_e32 v60, v62
	ds_load_2addr_b32 v[43:44], v43 offset0:40 offset1:157
	ds_load_2addr_b32 v[49:50], v49 offset0:18 offset1:135
	v_add_nc_u32_e32 v85, 0x41d, v82
	v_mad_co_u64_u32 v[73:74], null, s17, v74, v[60:61]
	v_mov_b32_e32 v60, v72
	v_mad_co_u64_u32 v[71:72], null, s17, v83, v[65:66]
	s_delay_alu instid0(VALU_DEP_2) | instskip(NEXT) | instid1(VALU_DEP_4)
	v_lshlrev_b64_e32 v[59:60], 3, v[59:60]
	v_mov_b32_e32 v62, v73
	v_mul_hi_u32 v78, 0x756cac21, v77
	s_wait_loadcnt 0x0
	v_mul_f32_e32 v82, v13, v46
	s_delay_alu instid0(VALU_DEP_3)
	v_lshlrev_b64_e32 v[61:62], 3, v[61:62]
	v_add_co_u32 v59, vcc_lo, v80, v59
	s_wait_dscnt 0x1
	v_mul_f32_e32 v28, v43, v28
	v_mad_co_u64_u32 v[74:75], null, s16, v85, 0
	v_fma_f32 v43, v43, v27, -v69
	v_sub_nc_u32_e32 v79, v77, v78
	s_wait_dscnt 0x0
	v_dual_fmac_f32 v28, v12, v27 :: v_dual_mul_f32 v27, v49, v1
	s_wait_alu 0xfffd
	v_add_co_ci_u32_e32 v60, vcc_lo, v81, v60, vcc_lo
	v_mov_b32_e32 v68, v75
	ds_load_2addr_b32 v[51:52], v54 offset0:106 offset1:223
	ds_load_2addr_b32 v[53:54], v55 offset0:62 offset1:179
	;; [unrolled: 1-line block ×3, first 2 shown]
	v_add_co_u32 v61, vcc_lo, v80, v61
	v_mad_co_u64_u32 v[72:73], null, s17, v84, v[67:68]
	v_mov_b32_e32 v67, v71
	v_mul_f32_e32 v71, v24, v32
	v_mul_f32_e32 v32, v76, v32
	s_wait_alu 0xfffd
	v_add_co_ci_u32_e32 v62, vcc_lo, v81, v62, vcc_lo
	v_lshlrev_b64_e32 v[65:66], 3, v[66:67]
	v_mul_f32_e32 v67, v23, v26
	v_mul_f32_e32 v26, v42, v26
	v_mul_f32_e32 v73, v21, v30
	v_mul_f32_e32 v30, v50, v30
	v_fmac_f32_e32 v32, v24, v31
	v_fma_f32 v42, v42, v25, -v67
	v_fmac_f32_e32 v26, v23, v25
	v_fma_f32 v50, v50, v29, -v73
	s_wait_dscnt 0x1
	v_mul_f32_e32 v25, v54, v36
	v_dual_mul_f32 v12, v22, v34 :: v_dual_mul_f32 v23, v15, v3
	v_fmac_f32_e32 v30, v21, v29
	v_dual_mul_f32 v24, v20, v1 :: v_dual_mul_f32 v29, v41, v34
	v_fma_f32 v67, v76, v31, -v71
	v_mul_f32_e32 v21, v17, v36
	s_wait_dscnt 0x0
	v_mul_f32_e32 v31, v56, v3
	v_fmac_f32_e32 v25, v17, v35
	v_fma_f32 v12, v41, v33, -v12
	v_sub_f32_e32 v41, v28, v30
	v_fmac_f32_e32 v29, v22, v33
	v_dual_sub_f32 v22, v26, v28 :: v_dual_sub_f32 v33, v32, v30
	v_dual_sub_f32 v1, v42, v43 :: v_dual_add_f32 v34, v43, v50
	v_dual_sub_f32 v3, v67, v50 :: v_dual_sub_f32 v36, v26, v32
	v_fma_f32 v21, v54, v35, -v21
	v_add_f32_e32 v17, v28, v30
	v_sub_f32_e32 v35, v42, v67
	v_sub_f32_e32 v69, v43, v42
	v_fma_f32 v24, v49, v0, -v24
	v_sub_f32_e32 v49, v50, v67
	v_add_f32_e32 v71, v42, v67
	v_sub_f32_e32 v73, v30, v32
	v_fma_f32 v56, v56, v2, -v23
	v_dual_fmac_f32 v31, v15, v2 :: v_dual_add_f32 v2, v26, v32
	v_add_f32_e32 v15, v42, v51
	v_dual_add_f32 v23, v18, v26 :: v_dual_mul_f32 v42, v16, v40
	v_mul_f32_e32 v40, v53, v40
	v_fmac_f32_e32 v27, v20, v0
	v_sub_f32_e32 v20, v28, v26
	v_dual_mul_f32 v26, v19, v38 :: v_dual_mul_f32 v75, v14, v48
	v_dual_add_f32 v33, v22, v33 :: v_dual_mul_f32 v22, v52, v38
	v_sub_f32_e32 v54, v43, v50
	v_add_f32_e32 v76, v1, v3
	v_fma_f32 v1, -0.5, v34, v51
	v_fma_f32 v0, -0.5, v17, v18
	v_add_f32_e32 v34, v69, v49
	v_mul_f32_e32 v38, v55, v48
	v_add_f32_e32 v48, v20, v73
	v_fma_f32 v3, -0.5, v71, v51
	v_fma_f32 v2, -0.5, v2, v18
	v_add_f32_e32 v18, v23, v28
	v_add_f32_e32 v17, v43, v15
	v_dual_mul_f32 v43, v44, v46 :: v_dual_sub_f32 v28, v25, v27
	v_sub_f32_e32 v20, v12, v21
	v_fma_f32 v23, v52, v37, -v26
	v_sub_f32_e32 v26, v56, v24
	v_fma_f32 v42, v53, v39, -v42
	v_sub_f32_e32 v46, v29, v31
	v_dual_add_f32 v49, v21, v24 :: v_dual_fmac_f32 v22, v19, v37
	v_dual_sub_f32 v19, v29, v25 :: v_dual_fmac_f32 v40, v16, v39
	v_dual_add_f32 v16, v25, v27 :: v_dual_sub_f32 v71, v24, v56
	v_dual_sub_f32 v51, v21, v24 :: v_dual_add_f32 v52, v12, v11
	v_add_f32_e32 v53, v9, v29
	v_fma_f32 v55, v55, v47, -v75
	v_sub_f32_e32 v75, v25, v29
	v_dual_add_f32 v29, v29, v31 :: v_dual_add_f32 v30, v18, v30
	v_sub_f32_e32 v37, v31, v27
	v_sub_f32_e32 v39, v12, v56
	v_dual_sub_f32 v69, v21, v12 :: v_dual_fmac_f32 v38, v14, v47
	v_dual_add_f32 v73, v12, v56 :: v_dual_fmamk_f32 v12, v35, 0x3f737871, v0
	v_fma_f32 v44, v44, v45, -v82
	v_dual_sub_f32 v82, v27, v31 :: v_dual_fmac_f32 v43, v13, v45
	v_dual_fmac_f32 v0, 0xbf737871, v35 :: v_dual_fmamk_f32 v13, v36, 0xbf737871, v1
	v_fmamk_f32 v14, v54, 0xbf737871, v2
	s_delay_alu instid0(VALU_DEP_4)
	v_dual_fmac_f32 v1, 0x3f737871, v36 :: v_dual_sub_f32 v84, v44, v55
	v_dual_fmac_f32 v2, 0x3f737871, v54 :: v_dual_fmamk_f32 v15, v41, 0x3f737871, v3
	v_fmac_f32_e32 v3, 0xbf737871, v41
	v_add_f32_e32 v47, v20, v26
	v_fma_f32 v16, -0.5, v16, v9
	v_add_f32_e32 v26, v21, v52
	v_dual_add_f32 v25, v53, v25 :: v_dual_fmac_f32 v2, 0xbf167918, v35
	v_fma_f32 v18, -0.5, v29, v9
	v_add_f32_e32 v45, v50, v17
	v_fma_f32 v17, -0.5, v49, v11
	v_dual_add_f32 v37, v19, v37 :: v_dual_fmac_f32 v14, 0x3f167918, v35
	v_dual_add_f32 v49, v69, v71 :: v_dual_add_f32 v88, v23, v10
	v_fma_f32 v19, -0.5, v73, v11
	v_add_f32_e32 v50, v75, v82
	v_sub_f32_e32 v9, v23, v42
	v_dual_add_f32 v29, v42, v44 :: v_dual_fmac_f32 v0, 0xbf167918, v54
	v_dual_sub_f32 v52, v22, v38 :: v_dual_sub_f32 v53, v40, v43
	v_dual_sub_f32 v69, v22, v40 :: v_dual_add_f32 v20, v32, v30
	v_dual_sub_f32 v71, v38, v43 :: v_dual_add_f32 v30, v24, v26
	v_dual_add_f32 v73, v40, v43 :: v_dual_fmamk_f32 v24, v51, 0xbf737871, v18
	v_fmac_f32_e32 v15, 0xbf167918, v36
	v_dual_fmac_f32 v3, 0x3f167918, v36 :: v_dual_sub_f32 v36, v40, v22
	v_add_f32_e32 v35, v22, v38
	v_dual_add_f32 v89, v8, v22 :: v_dual_fmac_f32 v14, 0x3e9e377a, v48
	v_fmamk_f32 v22, v39, 0xbf737871, v16
	v_dual_fmac_f32 v13, 0xbf167918, v41 :: v_dual_add_f32 v32, v25, v27
	v_fmac_f32_e32 v1, 0x3f167918, v41
	v_dual_sub_f32 v41, v43, v38 :: v_dual_fmac_f32 v18, 0x3f737871, v51
	v_dual_sub_f32 v11, v55, v44 :: v_dual_fmac_f32 v12, 0x3f167918, v54
	v_add_f32_e32 v87, v23, v55
	s_delay_alu instid0(VALU_DEP_3)
	v_dual_sub_f32 v75, v23, v55 :: v_dual_add_f32 v36, v36, v41
	v_dual_sub_f32 v83, v42, v23 :: v_dual_add_f32 v40, v89, v40
	v_fma_f32 v27, -0.5, v29, v10
	v_fma_f32 v26, -0.5, v73, v8
	v_fmamk_f32 v23, v46, 0x3f737871, v17
	v_dual_fmac_f32 v17, 0xbf737871, v46 :: v_dual_sub_f32 v82, v42, v44
	v_dual_add_f32 v21, v67, v45 :: v_dual_fmac_f32 v2, 0x3e9e377a, v48
	v_fmac_f32_e32 v16, 0x3f737871, v39
	v_dual_add_f32 v45, v9, v11 :: v_dual_fmac_f32 v0, 0x3e9e377a, v33
	v_fma_f32 v8, -0.5, v35, v8
	v_fmac_f32_e32 v12, 0x3e9e377a, v33
	v_fma_f32 v9, -0.5, v87, v10
	v_dual_add_f32 v35, v42, v88 :: v_dual_fmac_f32 v16, 0x3f167918, v51
	v_fmamk_f32 v25, v28, 0x3f737871, v19
	v_dual_fmac_f32 v19, 0xbf737871, v28 :: v_dual_add_f32 v54, v69, v71
	v_fmac_f32_e32 v15, 0x3e9e377a, v34
	v_fmac_f32_e32 v23, 0x3f167918, v28
	v_dual_fmac_f32 v22, 0xbf167918, v51 :: v_dual_fmac_f32 v17, 0xbf167918, v28
	v_fmac_f32_e32 v24, 0x3f167918, v39
	v_fmac_f32_e32 v3, 0x3e9e377a, v34
	v_fmamk_f32 v28, v75, 0x3f737871, v26
	s_delay_alu instid0(VALU_DEP_4)
	v_fmac_f32_e32 v22, 0x3e9e377a, v37
	v_fmac_f32_e32 v26, 0xbf737871, v75
	v_add_f32_e32 v34, v40, v43
	v_fmamk_f32 v29, v52, 0xbf737871, v27
	v_fmac_f32_e32 v27, 0x3f737871, v52
	v_dual_add_f32 v11, v56, v30 :: v_dual_fmac_f32 v16, 0x3e9e377a, v37
	v_dual_add_f32 v10, v31, v32 :: v_dual_fmamk_f32 v31, v53, 0x3f737871, v9
	v_dual_fmamk_f32 v30, v82, 0xbf737871, v8 :: v_dual_fmac_f32 v9, 0xbf737871, v53
	v_fmac_f32_e32 v8, 0x3f737871, v82
	v_dual_fmac_f32 v13, 0x3e9e377a, v76 :: v_dual_add_f32 v32, v44, v35
	v_fmac_f32_e32 v25, 0xbf167918, v46
	v_fmac_f32_e32 v27, 0x3f167918, v53
	s_delay_alu instid0(VALU_DEP_4)
	v_fmac_f32_e32 v8, 0xbf167918, v75
	v_dual_fmac_f32 v26, 0xbf167918, v82 :: v_dual_add_f32 v67, v83, v84
	v_fmac_f32_e32 v18, 0xbf167918, v39
	v_dual_fmac_f32 v19, 0x3f167918, v46 :: v_dual_fmac_f32 v30, 0x3f167918, v75
	v_fmac_f32_e32 v9, 0x3f167918, v52
	v_fmac_f32_e32 v31, 0xbf167918, v52
	v_dual_fmac_f32 v28, 0x3f167918, v82 :: v_dual_add_f32 v33, v55, v32
	v_dual_add_f32 v32, v38, v34 :: v_dual_fmac_f32 v29, 0xbf167918, v53
	v_dual_fmac_f32 v25, 0x3e9e377a, v49 :: v_dual_fmac_f32 v26, 0x3e9e377a, v54
	v_fmac_f32_e32 v27, 0x3e9e377a, v45
	v_dual_fmac_f32 v19, 0x3e9e377a, v49 :: v_dual_fmac_f32 v8, 0x3e9e377a, v36
	v_fmac_f32_e32 v9, 0x3e9e377a, v67
	;; [unrolled: 2-line block ×3, first 2 shown]
	v_dual_fmac_f32 v29, 0x3e9e377a, v45 :: v_dual_fmac_f32 v28, 0x3e9e377a, v54
	s_clause 0x4
	global_store_b64 v[4:5], v[32:33], off
	global_store_b64 v[6:7], v[26:27], off
	;; [unrolled: 1-line block ×5, first 2 shown]
	v_lshrrev_b32_e32 v7, 1, v79
	v_add_co_u32 v63, vcc_lo, v80, v63
	v_mad_co_u64_u32 v[4:5], null, s17, v85, v[68:69]
	s_delay_alu instid0(VALU_DEP_3)
	v_add_nc_u32_e32 v9, v7, v78
	s_wait_alu 0xfffd
	v_add_co_ci_u32_e32 v64, vcc_lo, v81, v64, vcc_lo
	v_mad_co_u64_u32 v[5:6], null, s16, v86, 0
	v_add_co_u32 v7, vcc_lo, v80, v65
	v_dual_fmac_f32 v23, 0x3e9e377a, v47 :: v_dual_fmac_f32 v18, 0x3e9e377a, v50
	s_wait_alu 0xfffd
	v_add_co_ci_u32_e32 v8, vcc_lo, v81, v66, vcc_lo
	v_lshrrev_b32_e32 v26, 8, v9
	global_store_b64 v[63:64], v[10:11], off
	v_mov_b32_e32 v75, v4
	global_store_b64 v[7:8], v[22:23], off
	v_mov_b32_e32 v4, v6
	v_mul_u32_u24_e32 v22, 0x15f, v26
	v_dual_fmac_f32 v1, 0x3e9e377a, v76 :: v_dual_fmac_f32 v24, 0x3e9e377a, v50
	v_lshlrev_b64_e32 v[8:9], 3, v[74:75]
	s_delay_alu instid0(VALU_DEP_4) | instskip(NEXT) | instid1(VALU_DEP_4)
	v_mad_co_u64_u32 v[10:11], null, s17, v86, v[4:5]
	v_sub_nc_u32_e32 v4, v77, v22
	s_delay_alu instid0(VALU_DEP_1) | instskip(SKIP_1) | instid1(VALU_DEP_2)
	v_mad_u32_u24 v26, 0x6db, v26, v4
	v_mov_b32_e32 v71, v72
	v_add_nc_u32_e32 v27, 0x57c, v26
	s_delay_alu instid0(VALU_DEP_2) | instskip(NEXT) | instid1(VALU_DEP_1)
	v_lshlrev_b64_e32 v[6:7], 3, v[70:71]
	v_add_co_u32 v22, vcc_lo, v80, v6
	s_wait_alu 0xfffd
	s_delay_alu instid0(VALU_DEP_2)
	v_add_co_ci_u32_e32 v23, vcc_lo, v81, v7, vcc_lo
	v_add_co_u32 v7, vcc_lo, v80, v8
	s_wait_alu 0xfffd
	v_add_co_ci_u32_e32 v8, vcc_lo, v81, v9, vcc_lo
	v_mov_b32_e32 v6, v10
	v_mad_co_u64_u32 v[9:10], null, s16, v26, 0
	global_store_b64 v[22:23], v[18:19], off
	v_add_nc_u32_e32 v22, 0x15f, v26
	global_store_b64 v[7:8], v[24:25], off
	v_add_nc_u32_e32 v24, 0x2be, v26
	v_lshlrev_b64_e32 v[4:5], 3, v[5:6]
	v_mov_b32_e32 v8, v10
	v_mad_co_u64_u32 v[6:7], null, s16, v22, 0
	s_delay_alu instid0(VALU_DEP_4) | instskip(NEXT) | instid1(VALU_DEP_3)
	v_mad_co_u64_u32 v[18:19], null, s16, v24, 0
	v_mad_co_u64_u32 v[10:11], null, s17, v26, v[8:9]
	v_add_nc_u32_e32 v11, 0x41d, v26
	v_add_co_u32 v4, vcc_lo, v80, v4
	v_mad_co_u64_u32 v[7:8], null, s17, v22, v[7:8]
	v_mov_b32_e32 v8, v19
	s_delay_alu instid0(VALU_DEP_4) | instskip(SKIP_2) | instid1(VALU_DEP_3)
	v_mad_co_u64_u32 v[22:23], null, s16, v11, 0
	s_wait_alu 0xfffd
	v_add_co_ci_u32_e32 v5, vcc_lo, v81, v5, vcc_lo
	v_mad_co_u64_u32 v[24:25], null, s17, v24, v[8:9]
	v_mad_co_u64_u32 v[25:26], null, s16, v27, 0
	global_store_b64 v[4:5], v[16:17], off
	v_mov_b32_e32 v4, v23
	v_lshlrev_b64_e32 v[6:7], 3, v[6:7]
	v_lshlrev_b64_e32 v[8:9], 3, v[9:10]
	v_mov_b32_e32 v19, v24
	s_delay_alu instid0(VALU_DEP_4) | instskip(SKIP_1) | instid1(VALU_DEP_4)
	v_mad_co_u64_u32 v[4:5], null, s17, v11, v[4:5]
	v_mov_b32_e32 v5, v26
	v_add_co_u32 v8, vcc_lo, v80, v8
	s_delay_alu instid0(VALU_DEP_4)
	v_lshlrev_b64_e32 v[16:17], 3, v[18:19]
	s_wait_alu 0xfffd
	v_add_co_ci_u32_e32 v9, vcc_lo, v81, v9, vcc_lo
	v_mad_co_u64_u32 v[10:11], null, s17, v27, v[5:6]
	v_mov_b32_e32 v23, v4
	v_add_co_u32 v4, vcc_lo, v80, v6
	s_wait_alu 0xfffd
	v_add_co_ci_u32_e32 v5, vcc_lo, v81, v7, vcc_lo
	s_delay_alu instid0(VALU_DEP_3) | instskip(SKIP_4) | instid1(VALU_DEP_3)
	v_lshlrev_b64_e32 v[6:7], 3, v[22:23]
	v_mov_b32_e32 v26, v10
	v_add_co_u32 v10, vcc_lo, v80, v16
	s_wait_alu 0xfffd
	v_add_co_ci_u32_e32 v11, vcc_lo, v81, v17, vcc_lo
	v_lshlrev_b64_e32 v[16:17], 3, v[25:26]
	v_add_co_u32 v6, vcc_lo, v80, v6
	s_wait_alu 0xfffd
	v_add_co_ci_u32_e32 v7, vcc_lo, v81, v7, vcc_lo
	s_delay_alu instid0(VALU_DEP_3)
	v_add_co_u32 v16, vcc_lo, v80, v16
	s_wait_alu 0xfffd
	v_add_co_ci_u32_e32 v17, vcc_lo, v81, v17, vcc_lo
	s_clause 0x4
	global_store_b64 v[8:9], v[20:21], off
	global_store_b64 v[4:5], v[0:1], off
	;; [unrolled: 1-line block ×5, first 2 shown]
.LBB0_21:
	s_nop 0
	s_sendmsg sendmsg(MSG_DEALLOC_VGPRS)
	s_endpgm
	.section	.rodata,"a",@progbits
	.p2align	6, 0x0
	.amdhsa_kernel fft_rtc_back_len1755_factors_13_3_3_3_5_wgs_117_tpt_117_halfLds_sp_op_CI_CI_sbrr_dirReg
		.amdhsa_group_segment_fixed_size 0
		.amdhsa_private_segment_fixed_size 0
		.amdhsa_kernarg_size 104
		.amdhsa_user_sgpr_count 2
		.amdhsa_user_sgpr_dispatch_ptr 0
		.amdhsa_user_sgpr_queue_ptr 0
		.amdhsa_user_sgpr_kernarg_segment_ptr 1
		.amdhsa_user_sgpr_dispatch_id 0
		.amdhsa_user_sgpr_private_segment_size 0
		.amdhsa_wavefront_size32 1
		.amdhsa_uses_dynamic_stack 0
		.amdhsa_enable_private_segment 0
		.amdhsa_system_sgpr_workgroup_id_x 1
		.amdhsa_system_sgpr_workgroup_id_y 0
		.amdhsa_system_sgpr_workgroup_id_z 0
		.amdhsa_system_sgpr_workgroup_info 0
		.amdhsa_system_vgpr_workitem_id 0
		.amdhsa_next_free_vgpr 90
		.amdhsa_next_free_sgpr 43
		.amdhsa_reserve_vcc 1
		.amdhsa_float_round_mode_32 0
		.amdhsa_float_round_mode_16_64 0
		.amdhsa_float_denorm_mode_32 3
		.amdhsa_float_denorm_mode_16_64 3
		.amdhsa_fp16_overflow 0
		.amdhsa_workgroup_processor_mode 1
		.amdhsa_memory_ordered 1
		.amdhsa_forward_progress 0
		.amdhsa_round_robin_scheduling 0
		.amdhsa_exception_fp_ieee_invalid_op 0
		.amdhsa_exception_fp_denorm_src 0
		.amdhsa_exception_fp_ieee_div_zero 0
		.amdhsa_exception_fp_ieee_overflow 0
		.amdhsa_exception_fp_ieee_underflow 0
		.amdhsa_exception_fp_ieee_inexact 0
		.amdhsa_exception_int_div_zero 0
	.end_amdhsa_kernel
	.text
.Lfunc_end0:
	.size	fft_rtc_back_len1755_factors_13_3_3_3_5_wgs_117_tpt_117_halfLds_sp_op_CI_CI_sbrr_dirReg, .Lfunc_end0-fft_rtc_back_len1755_factors_13_3_3_3_5_wgs_117_tpt_117_halfLds_sp_op_CI_CI_sbrr_dirReg
                                        ; -- End function
	.section	.AMDGPU.csdata,"",@progbits
; Kernel info:
; codeLenInByte = 17256
; NumSgprs: 45
; NumVgprs: 90
; ScratchSize: 0
; MemoryBound: 0
; FloatMode: 240
; IeeeMode: 1
; LDSByteSize: 0 bytes/workgroup (compile time only)
; SGPRBlocks: 5
; VGPRBlocks: 11
; NumSGPRsForWavesPerEU: 45
; NumVGPRsForWavesPerEU: 90
; Occupancy: 16
; WaveLimiterHint : 1
; COMPUTE_PGM_RSRC2:SCRATCH_EN: 0
; COMPUTE_PGM_RSRC2:USER_SGPR: 2
; COMPUTE_PGM_RSRC2:TRAP_HANDLER: 0
; COMPUTE_PGM_RSRC2:TGID_X_EN: 1
; COMPUTE_PGM_RSRC2:TGID_Y_EN: 0
; COMPUTE_PGM_RSRC2:TGID_Z_EN: 0
; COMPUTE_PGM_RSRC2:TIDIG_COMP_CNT: 0
	.text
	.p2alignl 7, 3214868480
	.fill 96, 4, 3214868480
	.type	__hip_cuid_819aaa8621f55c5b,@object ; @__hip_cuid_819aaa8621f55c5b
	.section	.bss,"aw",@nobits
	.globl	__hip_cuid_819aaa8621f55c5b
__hip_cuid_819aaa8621f55c5b:
	.byte	0                               ; 0x0
	.size	__hip_cuid_819aaa8621f55c5b, 1

	.ident	"AMD clang version 19.0.0git (https://github.com/RadeonOpenCompute/llvm-project roc-6.4.0 25133 c7fe45cf4b819c5991fe208aaa96edf142730f1d)"
	.section	".note.GNU-stack","",@progbits
	.addrsig
	.addrsig_sym __hip_cuid_819aaa8621f55c5b
	.amdgpu_metadata
---
amdhsa.kernels:
  - .args:
      - .actual_access:  read_only
        .address_space:  global
        .offset:         0
        .size:           8
        .value_kind:     global_buffer
      - .offset:         8
        .size:           8
        .value_kind:     by_value
      - .actual_access:  read_only
        .address_space:  global
        .offset:         16
        .size:           8
        .value_kind:     global_buffer
      - .actual_access:  read_only
        .address_space:  global
        .offset:         24
        .size:           8
        .value_kind:     global_buffer
      - .actual_access:  read_only
        .address_space:  global
        .offset:         32
        .size:           8
        .value_kind:     global_buffer
      - .offset:         40
        .size:           8
        .value_kind:     by_value
      - .actual_access:  read_only
        .address_space:  global
        .offset:         48
        .size:           8
        .value_kind:     global_buffer
      - .actual_access:  read_only
        .address_space:  global
        .offset:         56
        .size:           8
        .value_kind:     global_buffer
      - .offset:         64
        .size:           4
        .value_kind:     by_value
      - .actual_access:  read_only
        .address_space:  global
        .offset:         72
        .size:           8
        .value_kind:     global_buffer
      - .actual_access:  read_only
        .address_space:  global
        .offset:         80
        .size:           8
        .value_kind:     global_buffer
      - .actual_access:  read_only
        .address_space:  global
        .offset:         88
        .size:           8
        .value_kind:     global_buffer
      - .actual_access:  write_only
        .address_space:  global
        .offset:         96
        .size:           8
        .value_kind:     global_buffer
    .group_segment_fixed_size: 0
    .kernarg_segment_align: 8
    .kernarg_segment_size: 104
    .language:       OpenCL C
    .language_version:
      - 2
      - 0
    .max_flat_workgroup_size: 117
    .name:           fft_rtc_back_len1755_factors_13_3_3_3_5_wgs_117_tpt_117_halfLds_sp_op_CI_CI_sbrr_dirReg
    .private_segment_fixed_size: 0
    .sgpr_count:     45
    .sgpr_spill_count: 0
    .symbol:         fft_rtc_back_len1755_factors_13_3_3_3_5_wgs_117_tpt_117_halfLds_sp_op_CI_CI_sbrr_dirReg.kd
    .uniform_work_group_size: 1
    .uses_dynamic_stack: false
    .vgpr_count:     90
    .vgpr_spill_count: 0
    .wavefront_size: 32
    .workgroup_processor_mode: 1
amdhsa.target:   amdgcn-amd-amdhsa--gfx1201
amdhsa.version:
  - 1
  - 2
...

	.end_amdgpu_metadata
